;; amdgpu-corpus repo=ROCm/rocFFT kind=compiled arch=gfx1201 opt=O3
	.text
	.amdgcn_target "amdgcn-amd-amdhsa--gfx1201"
	.amdhsa_code_object_version 6
	.protected	fft_rtc_back_len1683_factors_17_3_11_3_wgs_51_tpt_51_halfLds_dp_ip_CI_sbrr_dirReg ; -- Begin function fft_rtc_back_len1683_factors_17_3_11_3_wgs_51_tpt_51_halfLds_dp_ip_CI_sbrr_dirReg
	.globl	fft_rtc_back_len1683_factors_17_3_11_3_wgs_51_tpt_51_halfLds_dp_ip_CI_sbrr_dirReg
	.p2align	8
	.type	fft_rtc_back_len1683_factors_17_3_11_3_wgs_51_tpt_51_halfLds_dp_ip_CI_sbrr_dirReg,@function
fft_rtc_back_len1683_factors_17_3_11_3_wgs_51_tpt_51_halfLds_dp_ip_CI_sbrr_dirReg: ; @fft_rtc_back_len1683_factors_17_3_11_3_wgs_51_tpt_51_halfLds_dp_ip_CI_sbrr_dirReg
; %bb.0:
	s_clause 0x2
	s_load_b64 s[12:13], s[0:1], 0x18
	s_load_b128 s[4:7], s[0:1], 0x0
	s_load_b64 s[10:11], s[0:1], 0x50
	v_mul_u32_u24_e32 v1, 0x506, v0
	v_mov_b32_e32 v3, 0
	s_delay_alu instid0(VALU_DEP_2) | instskip(NEXT) | instid1(VALU_DEP_1)
	v_lshrrev_b32_e32 v1, 16, v1
	v_add_nc_u32_e32 v5, ttmp9, v1
	v_mov_b32_e32 v1, 0
	v_mov_b32_e32 v2, 0
	;; [unrolled: 1-line block ×3, first 2 shown]
	s_wait_kmcnt 0x0
	s_load_b64 s[8:9], s[12:13], 0x0
	v_cmp_lt_u64_e64 s2, s[6:7], 2
	s_delay_alu instid0(VALU_DEP_1)
	s_and_b32 vcc_lo, exec_lo, s2
	s_cbranch_vccnz .LBB0_8
; %bb.1:
	s_load_b64 s[2:3], s[0:1], 0x10
	v_mov_b32_e32 v1, 0
	v_mov_b32_e32 v2, 0
	s_add_nc_u64 s[14:15], s[12:13], 8
	s_mov_b64 s[16:17], 1
	s_wait_kmcnt 0x0
	s_add_nc_u64 s[18:19], s[2:3], 8
	s_mov_b32 s3, 0
.LBB0_2:                                ; =>This Inner Loop Header: Depth=1
	s_load_b64 s[20:21], s[18:19], 0x0
                                        ; implicit-def: $vgpr7_vgpr8
	s_mov_b32 s2, exec_lo
	s_wait_kmcnt 0x0
	v_or_b32_e32 v4, s21, v6
	s_delay_alu instid0(VALU_DEP_1)
	v_cmpx_ne_u64_e32 0, v[3:4]
	s_wait_alu 0xfffe
	s_xor_b32 s22, exec_lo, s2
	s_cbranch_execz .LBB0_4
; %bb.3:                                ;   in Loop: Header=BB0_2 Depth=1
	s_cvt_f32_u32 s2, s20
	s_cvt_f32_u32 s23, s21
	s_sub_nc_u64 s[26:27], 0, s[20:21]
	s_wait_alu 0xfffe
	s_delay_alu instid0(SALU_CYCLE_1) | instskip(SKIP_1) | instid1(SALU_CYCLE_2)
	s_fmamk_f32 s2, s23, 0x4f800000, s2
	s_wait_alu 0xfffe
	v_s_rcp_f32 s2, s2
	s_delay_alu instid0(TRANS32_DEP_1) | instskip(SKIP_1) | instid1(SALU_CYCLE_2)
	s_mul_f32 s2, s2, 0x5f7ffffc
	s_wait_alu 0xfffe
	s_mul_f32 s23, s2, 0x2f800000
	s_wait_alu 0xfffe
	s_delay_alu instid0(SALU_CYCLE_2) | instskip(SKIP_1) | instid1(SALU_CYCLE_2)
	s_trunc_f32 s23, s23
	s_wait_alu 0xfffe
	s_fmamk_f32 s2, s23, 0xcf800000, s2
	s_cvt_u32_f32 s25, s23
	s_wait_alu 0xfffe
	s_delay_alu instid0(SALU_CYCLE_1) | instskip(SKIP_1) | instid1(SALU_CYCLE_2)
	s_cvt_u32_f32 s24, s2
	s_wait_alu 0xfffe
	s_mul_u64 s[28:29], s[26:27], s[24:25]
	s_wait_alu 0xfffe
	s_mul_hi_u32 s31, s24, s29
	s_mul_i32 s30, s24, s29
	s_mul_hi_u32 s2, s24, s28
	s_mul_i32 s33, s25, s28
	s_wait_alu 0xfffe
	s_add_nc_u64 s[30:31], s[2:3], s[30:31]
	s_mul_hi_u32 s23, s25, s28
	s_mul_hi_u32 s34, s25, s29
	s_add_co_u32 s2, s30, s33
	s_wait_alu 0xfffe
	s_add_co_ci_u32 s2, s31, s23
	s_mul_i32 s28, s25, s29
	s_add_co_ci_u32 s29, s34, 0
	s_wait_alu 0xfffe
	s_add_nc_u64 s[28:29], s[2:3], s[28:29]
	s_wait_alu 0xfffe
	v_add_co_u32 v4, s2, s24, s28
	s_delay_alu instid0(VALU_DEP_1) | instskip(SKIP_1) | instid1(VALU_DEP_1)
	s_cmp_lg_u32 s2, 0
	s_add_co_ci_u32 s25, s25, s29
	v_readfirstlane_b32 s24, v4
	s_wait_alu 0xfffe
	s_delay_alu instid0(VALU_DEP_1)
	s_mul_u64 s[26:27], s[26:27], s[24:25]
	s_wait_alu 0xfffe
	s_mul_hi_u32 s29, s24, s27
	s_mul_i32 s28, s24, s27
	s_mul_hi_u32 s2, s24, s26
	s_mul_i32 s30, s25, s26
	s_wait_alu 0xfffe
	s_add_nc_u64 s[28:29], s[2:3], s[28:29]
	s_mul_hi_u32 s23, s25, s26
	s_mul_hi_u32 s24, s25, s27
	s_wait_alu 0xfffe
	s_add_co_u32 s2, s28, s30
	s_add_co_ci_u32 s2, s29, s23
	s_mul_i32 s26, s25, s27
	s_add_co_ci_u32 s27, s24, 0
	s_wait_alu 0xfffe
	s_add_nc_u64 s[26:27], s[2:3], s[26:27]
	s_wait_alu 0xfffe
	v_add_co_u32 v4, s2, v4, s26
	s_delay_alu instid0(VALU_DEP_1) | instskip(SKIP_1) | instid1(VALU_DEP_1)
	s_cmp_lg_u32 s2, 0
	s_add_co_ci_u32 s2, s25, s27
	v_mul_hi_u32 v13, v5, v4
	s_wait_alu 0xfffe
	v_mad_co_u64_u32 v[7:8], null, v5, s2, 0
	v_mad_co_u64_u32 v[9:10], null, v6, v4, 0
	;; [unrolled: 1-line block ×3, first 2 shown]
	s_delay_alu instid0(VALU_DEP_3) | instskip(SKIP_1) | instid1(VALU_DEP_4)
	v_add_co_u32 v4, vcc_lo, v13, v7
	s_wait_alu 0xfffd
	v_add_co_ci_u32_e32 v7, vcc_lo, 0, v8, vcc_lo
	s_delay_alu instid0(VALU_DEP_2) | instskip(SKIP_1) | instid1(VALU_DEP_2)
	v_add_co_u32 v4, vcc_lo, v4, v9
	s_wait_alu 0xfffd
	v_add_co_ci_u32_e32 v4, vcc_lo, v7, v10, vcc_lo
	s_wait_alu 0xfffd
	v_add_co_ci_u32_e32 v7, vcc_lo, 0, v12, vcc_lo
	s_delay_alu instid0(VALU_DEP_2) | instskip(SKIP_1) | instid1(VALU_DEP_2)
	v_add_co_u32 v4, vcc_lo, v4, v11
	s_wait_alu 0xfffd
	v_add_co_ci_u32_e32 v9, vcc_lo, 0, v7, vcc_lo
	s_delay_alu instid0(VALU_DEP_2) | instskip(SKIP_1) | instid1(VALU_DEP_3)
	v_mul_lo_u32 v10, s21, v4
	v_mad_co_u64_u32 v[7:8], null, s20, v4, 0
	v_mul_lo_u32 v11, s20, v9
	s_delay_alu instid0(VALU_DEP_2) | instskip(NEXT) | instid1(VALU_DEP_2)
	v_sub_co_u32 v7, vcc_lo, v5, v7
	v_add3_u32 v8, v8, v11, v10
	s_delay_alu instid0(VALU_DEP_1) | instskip(SKIP_1) | instid1(VALU_DEP_1)
	v_sub_nc_u32_e32 v10, v6, v8
	s_wait_alu 0xfffd
	v_subrev_co_ci_u32_e64 v10, s2, s21, v10, vcc_lo
	v_add_co_u32 v11, s2, v4, 2
	s_wait_alu 0xf1ff
	v_add_co_ci_u32_e64 v12, s2, 0, v9, s2
	v_sub_co_u32 v13, s2, v7, s20
	v_sub_co_ci_u32_e32 v8, vcc_lo, v6, v8, vcc_lo
	s_wait_alu 0xf1ff
	v_subrev_co_ci_u32_e64 v10, s2, 0, v10, s2
	s_delay_alu instid0(VALU_DEP_3) | instskip(NEXT) | instid1(VALU_DEP_3)
	v_cmp_le_u32_e32 vcc_lo, s20, v13
	v_cmp_eq_u32_e64 s2, s21, v8
	s_wait_alu 0xfffd
	v_cndmask_b32_e64 v13, 0, -1, vcc_lo
	v_cmp_le_u32_e32 vcc_lo, s21, v10
	s_wait_alu 0xfffd
	v_cndmask_b32_e64 v14, 0, -1, vcc_lo
	v_cmp_le_u32_e32 vcc_lo, s20, v7
	;; [unrolled: 3-line block ×3, first 2 shown]
	s_wait_alu 0xfffd
	v_cndmask_b32_e64 v15, 0, -1, vcc_lo
	v_cmp_eq_u32_e32 vcc_lo, s21, v10
	s_wait_alu 0xf1ff
	s_delay_alu instid0(VALU_DEP_2)
	v_cndmask_b32_e64 v7, v15, v7, s2
	s_wait_alu 0xfffd
	v_cndmask_b32_e32 v10, v14, v13, vcc_lo
	v_add_co_u32 v13, vcc_lo, v4, 1
	s_wait_alu 0xfffd
	v_add_co_ci_u32_e32 v14, vcc_lo, 0, v9, vcc_lo
	s_delay_alu instid0(VALU_DEP_3) | instskip(SKIP_2) | instid1(VALU_DEP_3)
	v_cmp_ne_u32_e32 vcc_lo, 0, v10
	s_wait_alu 0xfffd
	v_cndmask_b32_e32 v10, v13, v11, vcc_lo
	v_cndmask_b32_e32 v8, v14, v12, vcc_lo
	v_cmp_ne_u32_e32 vcc_lo, 0, v7
	s_wait_alu 0xfffd
	s_delay_alu instid0(VALU_DEP_2)
	v_dual_cndmask_b32 v7, v4, v10 :: v_dual_cndmask_b32 v8, v9, v8
.LBB0_4:                                ;   in Loop: Header=BB0_2 Depth=1
	s_wait_alu 0xfffe
	s_and_not1_saveexec_b32 s2, s22
	s_cbranch_execz .LBB0_6
; %bb.5:                                ;   in Loop: Header=BB0_2 Depth=1
	v_cvt_f32_u32_e32 v4, s20
	s_sub_co_i32 s22, 0, s20
	s_delay_alu instid0(VALU_DEP_1) | instskip(NEXT) | instid1(TRANS32_DEP_1)
	v_rcp_iflag_f32_e32 v4, v4
	v_mul_f32_e32 v4, 0x4f7ffffe, v4
	s_delay_alu instid0(VALU_DEP_1) | instskip(SKIP_1) | instid1(VALU_DEP_1)
	v_cvt_u32_f32_e32 v4, v4
	s_wait_alu 0xfffe
	v_mul_lo_u32 v7, s22, v4
	s_delay_alu instid0(VALU_DEP_1) | instskip(NEXT) | instid1(VALU_DEP_1)
	v_mul_hi_u32 v7, v4, v7
	v_add_nc_u32_e32 v4, v4, v7
	s_delay_alu instid0(VALU_DEP_1) | instskip(NEXT) | instid1(VALU_DEP_1)
	v_mul_hi_u32 v4, v5, v4
	v_mul_lo_u32 v7, v4, s20
	v_add_nc_u32_e32 v8, 1, v4
	s_delay_alu instid0(VALU_DEP_2) | instskip(NEXT) | instid1(VALU_DEP_1)
	v_sub_nc_u32_e32 v7, v5, v7
	v_subrev_nc_u32_e32 v9, s20, v7
	v_cmp_le_u32_e32 vcc_lo, s20, v7
	s_wait_alu 0xfffd
	s_delay_alu instid0(VALU_DEP_2) | instskip(NEXT) | instid1(VALU_DEP_1)
	v_dual_cndmask_b32 v7, v7, v9 :: v_dual_cndmask_b32 v4, v4, v8
	v_cmp_le_u32_e32 vcc_lo, s20, v7
	s_delay_alu instid0(VALU_DEP_2) | instskip(SKIP_1) | instid1(VALU_DEP_1)
	v_add_nc_u32_e32 v8, 1, v4
	s_wait_alu 0xfffd
	v_dual_cndmask_b32 v7, v4, v8 :: v_dual_mov_b32 v8, v3
.LBB0_6:                                ;   in Loop: Header=BB0_2 Depth=1
	s_wait_alu 0xfffe
	s_or_b32 exec_lo, exec_lo, s2
	s_load_b64 s[22:23], s[14:15], 0x0
	s_delay_alu instid0(VALU_DEP_1)
	v_mul_lo_u32 v4, v8, s20
	v_mul_lo_u32 v11, v7, s21
	v_mad_co_u64_u32 v[9:10], null, v7, s20, 0
	s_add_nc_u64 s[16:17], s[16:17], 1
	s_add_nc_u64 s[14:15], s[14:15], 8
	s_wait_alu 0xfffe
	v_cmp_ge_u64_e64 s2, s[16:17], s[6:7]
	s_add_nc_u64 s[18:19], s[18:19], 8
	s_delay_alu instid0(VALU_DEP_2) | instskip(NEXT) | instid1(VALU_DEP_3)
	v_add3_u32 v4, v10, v11, v4
	v_sub_co_u32 v5, vcc_lo, v5, v9
	s_wait_alu 0xfffd
	s_delay_alu instid0(VALU_DEP_2) | instskip(SKIP_3) | instid1(VALU_DEP_2)
	v_sub_co_ci_u32_e32 v4, vcc_lo, v6, v4, vcc_lo
	s_and_b32 vcc_lo, exec_lo, s2
	s_wait_kmcnt 0x0
	v_mul_lo_u32 v6, s23, v5
	v_mul_lo_u32 v4, s22, v4
	v_mad_co_u64_u32 v[1:2], null, s22, v5, v[1:2]
	s_delay_alu instid0(VALU_DEP_1)
	v_add3_u32 v2, v6, v2, v4
	s_wait_alu 0xfffe
	s_cbranch_vccnz .LBB0_9
; %bb.7:                                ;   in Loop: Header=BB0_2 Depth=1
	v_dual_mov_b32 v5, v7 :: v_dual_mov_b32 v6, v8
	s_branch .LBB0_2
.LBB0_8:
	v_dual_mov_b32 v8, v6 :: v_dual_mov_b32 v7, v5
.LBB0_9:
	s_lshl_b64 s[2:3], s[6:7], 3
	v_mul_hi_u32 v5, 0x5050506, v0
	s_wait_alu 0xfffe
	s_add_nc_u64 s[2:3], s[12:13], s[2:3]
                                        ; implicit-def: $vgpr42_vgpr43
                                        ; implicit-def: $vgpr46_vgpr47
                                        ; implicit-def: $vgpr50_vgpr51
                                        ; implicit-def: $vgpr54_vgpr55
                                        ; implicit-def: $vgpr58_vgpr59
                                        ; implicit-def: $vgpr62_vgpr63
                                        ; implicit-def: $vgpr102_vgpr103
                                        ; implicit-def: $vgpr98_vgpr99
                                        ; implicit-def: $vgpr106_vgpr107
                                        ; implicit-def: $vgpr110_vgpr111
                                        ; implicit-def: $vgpr122_vgpr123
                                        ; implicit-def: $vgpr118_vgpr119
                                        ; implicit-def: $vgpr126_vgpr127
                                        ; implicit-def: $vgpr130_vgpr131
                                        ; implicit-def: $vgpr134_vgpr135
                                        ; implicit-def: $vgpr114_vgpr115
                                        ; implicit-def: $vgpr78_vgpr79
	s_load_b64 s[2:3], s[2:3], 0x0
	s_load_b64 s[0:1], s[0:1], 0x20
	s_wait_kmcnt 0x0
	v_mul_lo_u32 v3, s2, v8
	v_mul_lo_u32 v4, s3, v7
	v_mad_co_u64_u32 v[1:2], null, s2, v7, v[1:2]
	v_cmp_gt_u64_e32 vcc_lo, s[0:1], v[7:8]
	s_delay_alu instid0(VALU_DEP_2) | instskip(SKIP_1) | instid1(VALU_DEP_2)
	v_add3_u32 v2, v4, v2, v3
	v_mul_u32_u24_e32 v3, 51, v5
	v_lshlrev_b64_e32 v[1:2], 4, v[1:2]
	s_delay_alu instid0(VALU_DEP_2)
	v_sub_nc_u32_e32 v178, v0, v3
	s_clause 0x10
	scratch_store_b64 off, v[1:2], off offset:256
	; meta instruction
	scratch_store_b128 off, v[0:3], off
	; meta instruction
	scratch_store_b128 off, v[0:3], off offset:16
	; meta instruction
	scratch_store_b128 off, v[0:3], off offset:32
	;; [unrolled: 2-line block ×15, first 2 shown]
                                        ; implicit-def: $vgpr2_vgpr3
	s_and_saveexec_b32 s1, vcc_lo
	s_cbranch_execz .LBB0_13
; %bb.10:
	v_add_nc_u32_e32 v6, 0x63, v178
	v_mad_co_u64_u32 v[0:1], null, s8, v178, 0
	v_add_nc_u32_e32 v20, 0x5cd, v178
	v_add_nc_u32_e32 v16, 0x252, v178
	s_delay_alu instid0(VALU_DEP_4) | instskip(SKIP_2) | instid1(VALU_DEP_3)
	v_mad_co_u64_u32 v[2:3], null, s8, v6, 0
	v_add_nc_u32_e32 v18, 0x318, v178
	v_add_nc_u32_e32 v19, 0x56a, v178
	v_mad_co_u64_u32 v[4:5], null, s9, v178, v[1:2]
	s_delay_alu instid0(VALU_DEP_4) | instskip(NEXT) | instid1(VALU_DEP_1)
	v_dual_mov_b32 v1, v3 :: v_dual_add_nc_u32 v12, 0xc6, v178
	v_mad_co_u64_u32 v[5:6], null, s9, v6, v[1:2]
	s_delay_alu instid0(VALU_DEP_3)
	v_mov_b32_e32 v1, v4
	scratch_load_b64 v[3:4], off, off offset:256 ; 8-byte Folded Reload
	v_add_nc_u32_e32 v14, 0x129, v178
	v_mad_co_u64_u32 v[8:9], null, s8, v12, 0
	v_add_nc_u32_e32 v15, 0x18c, v178
	v_lshlrev_b64_e32 v[0:1], 4, v[0:1]
	s_wait_loadcnt 0x0
	v_add_co_u32 v6, s0, s10, v3
	v_mov_b32_e32 v3, v5
	v_mad_co_u64_u32 v[10:11], null, s8, v14, 0
	s_wait_alu 0xf1ff
	v_add_co_ci_u32_e64 v7, s0, s11, v4, s0
	v_mov_b32_e32 v4, v9
	v_lshlrev_b64_e32 v[2:3], 4, v[2:3]
	v_add_co_u32 v0, s0, v6, v0
	v_mov_b32_e32 v5, v11
	s_wait_alu 0xf1ff
	v_add_co_ci_u32_e64 v1, s0, v7, v1, s0
	s_delay_alu instid0(VALU_DEP_4) | instskip(NEXT) | instid1(VALU_DEP_3)
	v_add_co_u32 v2, s0, v6, v2
	v_mad_co_u64_u32 v[11:12], null, s9, v12, v[4:5]
	v_mad_co_u64_u32 v[12:13], null, s8, v15, 0
	;; [unrolled: 1-line block ×3, first 2 shown]
	v_add_nc_u32_e32 v14, 0x1ef, v178
	s_wait_alu 0xf1ff
	v_add_co_ci_u32_e64 v3, s0, v7, v3, s0
	v_mov_b32_e32 v9, v11
	s_clause 0x1
	global_load_b128 v[76:79], v[0:1], off
	global_load_b128 v[112:115], v[2:3], off
	v_dual_mov_b32 v2, v13 :: v_dual_mov_b32 v11, v4
	v_lshlrev_b64_e32 v[0:1], 4, v[8:9]
	v_mad_co_u64_u32 v[8:9], null, s8, v14, 0
	s_delay_alu instid0(VALU_DEP_3) | instskip(NEXT) | instid1(VALU_DEP_4)
	v_mad_co_u64_u32 v[2:3], null, s9, v15, v[2:3]
	v_lshlrev_b64_e32 v[4:5], 4, v[10:11]
	v_mad_co_u64_u32 v[10:11], null, s8, v16, 0
	v_add_co_u32 v0, s0, v6, v0
	v_mov_b32_e32 v3, v9
	s_wait_alu 0xf1ff
	v_add_co_ci_u32_e64 v1, s0, v7, v1, s0
	v_mov_b32_e32 v13, v2
	s_delay_alu instid0(VALU_DEP_3) | instskip(SKIP_4) | instid1(VALU_DEP_4)
	v_mad_co_u64_u32 v[2:3], null, s9, v14, v[3:4]
	v_add_co_u32 v3, s0, v6, v4
	s_wait_alu 0xf1ff
	v_add_co_ci_u32_e64 v4, s0, v7, v5, s0
	v_add_nc_u32_e32 v5, 0x2b5, v178
	v_dual_mov_b32 v9, v2 :: v_dual_mov_b32 v2, v11
	s_delay_alu instid0(VALU_DEP_2) | instskip(NEXT) | instid1(VALU_DEP_2)
	v_mad_co_u64_u32 v[14:15], null, s8, v5, 0
	v_lshlrev_b64_e32 v[8:9], 4, v[8:9]
	s_delay_alu instid0(VALU_DEP_3) | instskip(NEXT) | instid1(VALU_DEP_3)
	v_mad_co_u64_u32 v[16:17], null, s9, v16, v[2:3]
	v_mov_b32_e32 v2, v15
	v_lshlrev_b64_e32 v[12:13], 4, v[12:13]
	s_delay_alu instid0(VALU_DEP_3) | instskip(NEXT) | instid1(VALU_DEP_3)
	v_mov_b32_e32 v11, v16
	v_mad_co_u64_u32 v[15:16], null, s9, v5, v[2:3]
	s_delay_alu instid0(VALU_DEP_3) | instskip(SKIP_1) | instid1(VALU_DEP_4)
	v_add_co_u32 v12, s0, v6, v12
	s_wait_alu 0xf1ff
	v_add_co_ci_u32_e64 v13, s0, v7, v13, s0
	v_add_co_u32 v8, s0, v6, v8
	s_wait_alu 0xf1ff
	v_add_co_ci_u32_e64 v9, s0, v7, v9, s0
	v_mad_co_u64_u32 v[16:17], null, s8, v18, 0
	s_clause 0x3
	global_load_b128 v[132:135], v[0:1], off
	global_load_b128 v[128:131], v[3:4], off
	;; [unrolled: 1-line block ×4, first 2 shown]
	v_add_nc_u32_e32 v13, 0x37b, v178
	v_lshlrev_b64_e32 v[8:9], 4, v[14:15]
	v_add_nc_u32_e32 v14, 0x3de, v178
	v_lshlrev_b64_e32 v[0:1], 4, v[10:11]
	s_delay_alu instid0(VALU_DEP_4) | instskip(SKIP_1) | instid1(VALU_DEP_3)
	v_mad_co_u64_u32 v[3:4], null, s8, v13, 0
	v_mov_b32_e32 v2, v17
	v_add_co_u32 v0, s0, v6, v0
	s_wait_alu 0xf1ff
	s_delay_alu instid0(VALU_DEP_4) | instskip(NEXT) | instid1(VALU_DEP_3)
	v_add_co_ci_u32_e64 v1, s0, v7, v1, s0
	v_mad_co_u64_u32 v[10:11], null, s9, v18, v[2:3]
	v_mov_b32_e32 v2, v4
	v_mad_co_u64_u32 v[11:12], null, s8, v14, 0
	v_add_co_u32 v4, s0, v6, v8
	s_wait_alu 0xf1ff
	v_add_co_ci_u32_e64 v5, s0, v7, v9, s0
	v_mad_co_u64_u32 v[8:9], null, s9, v13, v[2:3]
	s_delay_alu instid0(VALU_DEP_4)
	v_dual_mov_b32 v2, v12 :: v_dual_add_nc_u32 v15, 0x441, v178
	v_mov_b32_e32 v17, v10
	s_clause 0x1
	global_load_b128 v[120:123], v[0:1], off
	global_load_b128 v[108:111], v[4:5], off
	v_mad_co_u64_u32 v[9:10], null, s8, v15, 0
	v_mov_b32_e32 v4, v8
	v_mad_co_u64_u32 v[12:13], null, s9, v14, v[2:3]
	v_lshlrev_b64_e32 v[0:1], 4, v[16:17]
	v_add_nc_u32_e32 v17, 0x507, v178
	s_delay_alu instid0(VALU_DEP_4) | instskip(SKIP_1) | instid1(VALU_DEP_4)
	v_lshlrev_b64_e32 v[3:4], 4, v[3:4]
	v_mov_b32_e32 v2, v10
	v_add_co_u32 v0, s0, v6, v0
	s_delay_alu instid0(VALU_DEP_2)
	v_mad_co_u64_u32 v[13:14], null, s9, v15, v[2:3]
	s_wait_alu 0xf1ff
	v_add_co_ci_u32_e64 v1, s0, v7, v1, s0
	v_add_co_u32 v2, s0, v6, v3
	s_wait_alu 0xf1ff
	v_add_co_ci_u32_e64 v3, s0, v7, v4, s0
	s_delay_alu instid0(VALU_DEP_4)
	v_mov_b32_e32 v10, v13
	v_lshlrev_b64_e32 v[4:5], 4, v[11:12]
	v_mad_co_u64_u32 v[13:14], null, s8, v19, 0
	v_add_nc_u32_e32 v8, 0x4a4, v178
	s_clause 0x1
	global_load_b128 v[104:107], v[0:1], off
	global_load_b128 v[96:99], v[2:3], off
	v_mad_co_u64_u32 v[15:16], null, s8, v20, 0
	v_add_co_u32 v0, s0, v6, v4
	s_wait_alu 0xf1ff
	v_add_co_ci_u32_e64 v1, s0, v7, v5, s0
	v_mov_b32_e32 v5, v14
	v_mad_co_u64_u32 v[11:12], null, s8, v8, 0
	v_lshlrev_b64_e32 v[3:4], 4, v[9:10]
	s_delay_alu instid0(VALU_DEP_2) | instskip(NEXT) | instid1(VALU_DEP_1)
	v_mov_b32_e32 v2, v12
	v_mad_co_u64_u32 v[8:9], null, s9, v8, v[2:3]
	v_mad_co_u64_u32 v[9:10], null, s8, v17, 0
	v_add_co_u32 v2, s0, v6, v3
	s_wait_alu 0xf1ff
	v_add_co_ci_u32_e64 v3, s0, v7, v4, s0
	s_delay_alu instid0(VALU_DEP_4)
	v_mov_b32_e32 v12, v8
	v_add_nc_u32_e32 v8, 0x630, v178
	v_mov_b32_e32 v4, v10
	s_clause 0x1
	global_load_b128 v[100:103], v[0:1], off
	global_load_b128 v[60:63], v[2:3], off
	v_mov_b32_e32 v0, v16
	v_lshlrev_b64_e32 v[1:2], 4, v[11:12]
	v_mad_co_u64_u32 v[17:18], null, s9, v17, v[4:5]
	v_mad_co_u64_u32 v[4:5], null, s9, v19, v[5:6]
	;; [unrolled: 1-line block ×3, first 2 shown]
	s_delay_alu instid0(VALU_DEP_3) | instskip(NEXT) | instid1(VALU_DEP_3)
	v_mov_b32_e32 v10, v17
	v_mov_b32_e32 v14, v4
	v_mad_co_u64_u32 v[3:4], null, s9, v20, v[0:1]
	s_delay_alu instid0(VALU_DEP_4) | instskip(SKIP_4) | instid1(VALU_DEP_3)
	v_mov_b32_e32 v0, v19
	v_add_co_u32 v1, s0, v6, v1
	v_lshlrev_b64_e32 v[4:5], 4, v[9:10]
	s_wait_alu 0xf1ff
	v_add_co_ci_u32_e64 v2, s0, v7, v2, s0
	v_mad_co_u64_u32 v[8:9], null, s9, v8, v[0:1]
	v_mov_b32_e32 v16, v3
	v_lshlrev_b64_e32 v[9:10], 4, v[13:14]
	v_add_co_u32 v3, s0, v6, v4
	s_wait_alu 0xf1ff
	v_add_co_ci_u32_e64 v4, s0, v7, v5, s0
	v_mov_b32_e32 v19, v8
	v_lshlrev_b64_e32 v[11:12], 4, v[15:16]
	v_add_co_u32 v8, s0, v6, v9
	s_wait_alu 0xf1ff
	v_add_co_ci_u32_e64 v9, s0, v7, v10, s0
	v_lshlrev_b64_e32 v[13:14], 4, v[18:19]
	s_delay_alu instid0(VALU_DEP_4) | instskip(SKIP_2) | instid1(VALU_DEP_3)
	v_add_co_u32 v10, s0, v6, v11
	s_wait_alu 0xf1ff
	v_add_co_ci_u32_e64 v11, s0, v7, v12, s0
	v_add_co_u32 v12, s0, v6, v13
	s_wait_alu 0xf1ff
	v_add_co_ci_u32_e64 v13, s0, v7, v14, s0
	s_clause 0x4
	global_load_b128 v[56:59], v[1:2], off
	global_load_b128 v[52:55], v[3:4], off
	;; [unrolled: 1-line block ×5, first 2 shown]
	v_cmp_gt_u32_e64 s0, 48, v178
                                        ; implicit-def: $vgpr2_vgpr3
                                        ; implicit-def: $vgpr0_vgpr1
	s_clause 0xf
	scratch_store_b128 off, v[2:5], off offset:240
	; meta instruction
	scratch_store_b128 off, v[2:5], off offset:224
	; meta instruction
	;; [unrolled: 2-line block ×15, first 2 shown]
	scratch_store_b128 off, v[2:5], off
	s_and_saveexec_b32 s2, s0
	s_cbranch_execz .LBB0_12
; %bb.11:
	v_add_nc_u32_e32 v8, 51, v178
	v_add_nc_u32_e32 v10, 0x96, v178
	v_add_nc_u32_e32 v12, 0xf9, v178
	v_add_nc_u32_e32 v16, 0x1bf, v178
	v_add_nc_u32_e32 v17, 0x222, v178
	v_mad_co_u64_u32 v[0:1], null, s8, v8, 0
	v_mad_co_u64_u32 v[2:3], null, s8, v10, 0
	v_mad_co_u64_u32 v[4:5], null, s8, v12, 0
	s_delay_alu instid0(VALU_DEP_2) | instskip(NEXT) | instid1(VALU_DEP_2)
	v_mad_co_u64_u32 v[8:9], null, s9, v8, v[1:2]
	v_mad_co_u64_u32 v[12:13], null, s9, v12, v[5:6]
	s_delay_alu instid0(VALU_DEP_2) | instskip(NEXT) | instid1(VALU_DEP_4)
	v_dual_mov_b32 v1, v8 :: v_dual_add_nc_u32 v14, 0x15c, v178
	v_mad_co_u64_u32 v[9:10], null, s9, v10, v[3:4]
	s_delay_alu instid0(VALU_DEP_3) | instskip(NEXT) | instid1(VALU_DEP_3)
	v_mov_b32_e32 v5, v12
	v_mad_co_u64_u32 v[10:11], null, s8, v14, 0
	s_delay_alu instid0(VALU_DEP_4) | instskip(NEXT) | instid1(VALU_DEP_3)
	v_lshlrev_b64_e32 v[0:1], 4, v[0:1]
	v_lshlrev_b64_e32 v[4:5], 4, v[4:5]
	v_mov_b32_e32 v3, v9
	v_mad_co_u64_u32 v[8:9], null, s8, v16, 0
	s_delay_alu instid0(VALU_DEP_4) | instskip(NEXT) | instid1(VALU_DEP_3)
	v_add_co_u32 v0, s0, v6, v0
	v_lshlrev_b64_e32 v[2:3], 4, v[2:3]
	s_wait_alu 0xf1ff
	v_add_co_ci_u32_e64 v1, s0, v7, v1, s0
	s_delay_alu instid0(VALU_DEP_2) | instskip(SKIP_1) | instid1(VALU_DEP_3)
	v_add_co_u32 v12, s0, v6, v2
	s_wait_alu 0xf1ff
	v_add_co_ci_u32_e64 v13, s0, v7, v3, s0
	v_add_co_u32 v4, s0, v6, v4
	s_wait_alu 0xf1ff
	v_add_co_ci_u32_e64 v5, s0, v7, v5, s0
	s_clause 0x1
	global_load_b128 v[0:3], v[0:1], off
	global_load_b128 v[18:21], v[12:13], off
	v_mad_co_u64_u32 v[14:15], null, s9, v14, v[11:12]
	global_load_b128 v[22:25], v[4:5], off
	v_mad_co_u64_u32 v[12:13], null, s8, v17, 0
	v_mov_b32_e32 v11, v14
	v_mad_co_u64_u32 v[14:15], null, s9, v16, v[9:10]
	s_delay_alu instid0(VALU_DEP_2) | instskip(NEXT) | instid1(VALU_DEP_2)
	v_lshlrev_b64_e32 v[10:11], 4, v[10:11]
	v_mov_b32_e32 v9, v14
	v_mad_co_u64_u32 v[13:14], null, s9, v17, v[13:14]
	s_delay_alu instid0(VALU_DEP_3) | instskip(NEXT) | instid1(VALU_DEP_3)
	v_add_co_u32 v10, s0, v6, v10
	v_lshlrev_b64_e32 v[8:9], 4, v[8:9]
	s_wait_alu 0xf1ff
	v_add_co_ci_u32_e64 v11, s0, v7, v11, s0
	s_delay_alu instid0(VALU_DEP_4) | instskip(NEXT) | instid1(VALU_DEP_3)
	v_lshlrev_b64_e32 v[12:13], 4, v[12:13]
	v_add_co_u32 v8, s0, v6, v8
	s_wait_alu 0xf1ff
	v_add_co_ci_u32_e64 v9, s0, v7, v9, s0
	s_delay_alu instid0(VALU_DEP_3)
	v_add_co_u32 v12, s0, v6, v12
	s_wait_alu 0xf1ff
	v_add_co_ci_u32_e64 v13, s0, v7, v13, s0
	s_wait_loadcnt 0x0
	scratch_store_b128 off, v[22:25], off offset:224 ; 16-byte Folded Spill
	s_clause 0x1
	global_load_b128 v[22:25], v[10:11], off
	global_load_b128 v[8:11], v[8:9], off
	scratch_store_b128 off, v[18:21], off offset:240 ; 16-byte Folded Spill
	v_add_nc_u32_e32 v18, 0x285, v178
	v_add_nc_u32_e32 v20, 0x2e8, v178
	s_delay_alu instid0(VALU_DEP_2) | instskip(NEXT) | instid1(VALU_DEP_2)
	v_mad_co_u64_u32 v[14:15], null, s8, v18, 0
	v_mad_co_u64_u32 v[16:17], null, s8, v20, 0
	s_delay_alu instid0(VALU_DEP_1) | instskip(NEXT) | instid1(VALU_DEP_1)
	v_mad_co_u64_u32 v[18:19], null, s9, v18, v[15:16]
	v_mov_b32_e32 v15, v18
	s_delay_alu instid0(VALU_DEP_3) | instskip(SKIP_1) | instid1(VALU_DEP_3)
	v_mad_co_u64_u32 v[17:18], null, s9, v20, v[17:18]
	v_add_nc_u32_e32 v20, 0x3ae, v178
	v_lshlrev_b64_e32 v[4:5], 4, v[14:15]
	s_delay_alu instid0(VALU_DEP_1) | instskip(SKIP_1) | instid1(VALU_DEP_2)
	v_add_co_u32 v4, s0, v6, v4
	s_wait_alu 0xf1ff
	v_add_co_ci_u32_e64 v5, s0, v7, v5, s0
	s_wait_loadcnt 0x1
	scratch_store_b128 off, v[22:25], off offset:208 ; 16-byte Folded Spill
	global_load_b128 v[23:26], v[4:5], off
	s_wait_loadcnt 0x1
	scratch_store_b128 off, v[8:11], off offset:192 ; 16-byte Folded Spill
	global_load_b128 v[8:11], v[12:13], off
	v_add_nc_u32_e32 v22, 0x411, v178
	s_wait_loadcnt 0x1
	scratch_store_b128 off, v[23:26], off offset:176 ; 16-byte Folded Spill
	s_wait_loadcnt 0x0
	scratch_store_b128 off, v[8:11], off offset:160 ; 16-byte Folded Spill
	v_mad_co_u64_u32 v[9:10], null, s8, v20, 0
	v_add_nc_u32_e32 v21, 0x34b, v178
	v_lshlrev_b64_e32 v[11:12], 4, v[16:17]
	s_delay_alu instid0(VALU_DEP_2) | instskip(NEXT) | instid1(VALU_DEP_1)
	v_mad_co_u64_u32 v[18:19], null, s8, v21, 0
	v_mov_b32_e32 v8, v19
	s_delay_alu instid0(VALU_DEP_1)
	v_mad_co_u64_u32 v[13:14], null, s9, v21, v[8:9]
	v_mov_b32_e32 v8, v10
	v_mad_co_u64_u32 v[14:15], null, s8, v22, 0
	v_add_co_u32 v10, s0, v6, v11
	s_wait_alu 0xf1ff
	v_add_co_ci_u32_e64 v11, s0, v7, v12, s0
	v_mov_b32_e32 v19, v13
	v_mad_co_u64_u32 v[12:13], null, s9, v20, v[8:9]
	v_dual_mov_b32 v8, v15 :: v_dual_add_nc_u32 v21, 0x474, v178
	s_delay_alu instid0(VALU_DEP_3)
	v_lshlrev_b64_e32 v[4:5], 4, v[18:19]
	global_load_b128 v[23:26], v[10:11], off
	v_mad_co_u64_u32 v[16:17], null, s8, v21, 0
	v_mov_b32_e32 v10, v12
	v_add_co_u32 v4, s0, v6, v4
	v_mad_co_u64_u32 v[18:19], null, s9, v22, v[8:9]
	s_delay_alu instid0(VALU_DEP_3) | instskip(SKIP_3) | instid1(VALU_DEP_2)
	v_lshlrev_b64_e32 v[9:10], 4, v[9:10]
	v_mov_b32_e32 v8, v17
	s_wait_alu 0xf1ff
	v_add_co_ci_u32_e64 v5, s0, v7, v5, s0
	v_mad_co_u64_u32 v[11:12], null, s9, v21, v[8:9]
	global_load_b128 v[19:22], v[4:5], off
	v_add_co_u32 v8, s0, v6, v9
	s_wait_alu 0xf1ff
	v_add_co_ci_u32_e64 v9, s0, v7, v10, s0
	v_mov_b32_e32 v15, v18
	v_mov_b32_e32 v17, v11
	s_delay_alu instid0(VALU_DEP_2) | instskip(NEXT) | instid1(VALU_DEP_1)
	v_lshlrev_b64_e32 v[12:13], 4, v[14:15]
	v_add_co_u32 v4, s0, v6, v12
	s_wait_alu 0xf1ff
	s_delay_alu instid0(VALU_DEP_2)
	v_add_co_ci_u32_e64 v5, s0, v7, v13, s0
	global_load_b128 v[27:30], v[4:5], off
	s_wait_loadcnt 0x1
	scratch_store_b128 off, v[19:22], off offset:112 ; 16-byte Folded Spill
	global_load_b128 v[19:22], v[8:9], off
	scratch_store_b128 off, v[23:26], off offset:128 ; 16-byte Folded Spill
	v_lshlrev_b64_e32 v[9:10], 4, v[16:17]
	v_add_nc_u32_e32 v23, 0x663, v178
	s_wait_loadcnt 0x1
	scratch_store_b128 off, v[27:30], off offset:144 ; 16-byte Folded Spill
	s_wait_loadcnt 0x0
	scratch_store_b128 off, v[19:22], off offset:64 ; 16-byte Folded Spill
	v_add_nc_u32_e32 v21, 0x59d, v178
	v_add_nc_u32_e32 v20, 0x53a, v178
	v_or_b32_e32 v22, 0x600, v178
	s_delay_alu instid0(VALU_DEP_3) | instskip(SKIP_1) | instid1(VALU_DEP_1)
	v_mad_co_u64_u32 v[16:17], null, s8, v21, 0
	v_add_nc_u32_e32 v18, 0x4d7, v178
	v_mad_co_u64_u32 v[14:15], null, s8, v18, 0
	s_delay_alu instid0(VALU_DEP_1) | instskip(NEXT) | instid1(VALU_DEP_1)
	v_mov_b32_e32 v8, v15
	v_mad_co_u64_u32 v[11:12], null, s9, v18, v[8:9]
	v_mad_co_u64_u32 v[12:13], null, s8, v20, 0
	v_add_co_u32 v8, s0, v6, v9
	s_wait_alu 0xf1ff
	v_add_co_ci_u32_e64 v9, s0, v7, v10, s0
	s_delay_alu instid0(VALU_DEP_4) | instskip(NEXT) | instid1(VALU_DEP_4)
	v_mov_b32_e32 v15, v11
	v_dual_mov_b32 v11, v17 :: v_dual_mov_b32 v10, v13
	v_mad_co_u64_u32 v[18:19], null, s8, v22, 0
	global_load_b128 v[27:30], v[8:9], off
	v_lshlrev_b64_e32 v[8:9], 4, v[14:15]
	v_mad_co_u64_u32 v[24:25], null, s9, v20, v[10:11]
	v_mad_co_u64_u32 v[10:11], null, s9, v21, v[11:12]
	;; [unrolled: 1-line block ×3, first 2 shown]
	v_mov_b32_e32 v4, v19
	v_add_co_u32 v8, s0, v6, v8
	v_mov_b32_e32 v13, v24
	v_mov_b32_e32 v17, v10
	s_delay_alu instid0(VALU_DEP_4) | instskip(SKIP_1) | instid1(VALU_DEP_4)
	v_mad_co_u64_u32 v[4:5], null, s9, v22, v[4:5]
	v_mov_b32_e32 v5, v26
	v_lshlrev_b64_e32 v[10:11], 4, v[12:13]
	s_wait_alu 0xf1ff
	v_add_co_ci_u32_e64 v9, s0, v7, v9, s0
	s_delay_alu instid0(VALU_DEP_3)
	v_mad_co_u64_u32 v[12:13], null, s9, v23, v[5:6]
	v_lshlrev_b64_e32 v[13:14], 4, v[16:17]
	v_mov_b32_e32 v19, v4
	v_add_co_u32 v4, s0, v6, v10
	s_wait_alu 0xf1ff
	v_add_co_ci_u32_e64 v5, s0, v7, v11, s0
	v_mov_b32_e32 v26, v12
	v_lshlrev_b64_e32 v[10:11], 4, v[18:19]
	v_add_co_u32 v12, s0, v6, v13
	s_wait_alu 0xf1ff
	v_add_co_ci_u32_e64 v13, s0, v7, v14, s0
	v_lshlrev_b64_e32 v[14:15], 4, v[25:26]
	s_delay_alu instid0(VALU_DEP_4) | instskip(SKIP_2) | instid1(VALU_DEP_3)
	v_add_co_u32 v10, s0, v6, v10
	s_wait_alu 0xf1ff
	v_add_co_ci_u32_e64 v11, s0, v7, v11, s0
	v_add_co_u32 v6, s0, v6, v14
	s_wait_alu 0xf1ff
	v_add_co_ci_u32_e64 v7, s0, v7, v15, s0
	s_clause 0x1
	global_load_b128 v[14:17], v[8:9], off
	global_load_b128 v[8:11], v[10:11], off
	s_wait_loadcnt 0x1
	scratch_store_b128 off, v[14:17], off offset:80 ; 16-byte Folded Spill
	s_clause 0x1
	global_load_b128 v[14:17], v[4:5], off
	global_load_b128 v[4:7], v[6:7], off
	s_wait_loadcnt 0x2
	scratch_store_b128 off, v[8:11], off offset:16 ; 16-byte Folded Spill
	s_wait_loadcnt 0x1
	scratch_store_b128 off, v[14:17], off offset:48 ; 16-byte Folded Spill
	s_wait_loadcnt 0x0
	scratch_store_b128 off, v[4:7], off     ; 16-byte Folded Spill
	global_load_b128 v[12:15], v[12:13], off
	scratch_store_b128 off, v[27:30], off offset:96 ; 16-byte Folded Spill
	s_wait_loadcnt 0x0
	scratch_store_b128 off, v[12:15], off offset:32 ; 16-byte Folded Spill
.LBB0_12:
	s_wait_alu 0xfffe
	s_or_b32 exec_lo, exec_lo, s2
.LBB0_13:
	s_wait_alu 0xfffe
	s_or_b32 exec_lo, exec_lo, s1
	s_wait_loadcnt 0xf
	v_add_f64_e32 v[136:137], v[112:113], v[76:77]
	s_wait_loadcnt 0x0
	v_add_f64_e64 v[138:139], v[114:115], -v[42:43]
	s_mov_b32 s42, 0x5d8e7cdc
	s_mov_b32 s48, 0x2a9d6da3
	;; [unrolled: 1-line block ×13, first 2 shown]
	v_add_f64_e64 v[140:141], v[134:135], -v[46:47]
	v_add_f64_e32 v[142:143], v[40:41], v[112:113]
	s_mov_b32 s41, 0xbfc7851a
	s_mov_b32 s52, 0x7c9e640b
	;; [unrolled: 1-line block ×18, first 2 shown]
	s_wait_alu 0xfffe
	s_mov_b32 s50, s24
	s_mov_b32 s28, s52
	;; [unrolled: 1-line block ×3, first 2 shown]
	v_add_f64_e32 v[136:137], v[132:133], v[136:137]
	v_mul_f64_e32 v[172:173], s[42:43], v[138:139]
	v_mul_f64_e32 v[174:175], s[48:49], v[138:139]
	;; [unrolled: 1-line block ×8, first 2 shown]
	s_mov_b32 s19, 0xbfe348c8
	s_mov_b32 s21, 0xbfeb34fa
	;; [unrolled: 1-line block ×3, first 2 shown]
	v_add_f64_e32 v[144:145], v[44:45], v[132:133]
	v_add_f64_e64 v[146:147], v[130:131], -v[50:51]
	s_mov_b32 s23, 0xbfef7484
	v_mul_f64_e32 v[187:188], s[48:49], v[140:141]
	v_mul_f64_e32 v[189:190], s[44:45], v[140:141]
	;; [unrolled: 1-line block ×6, first 2 shown]
	s_wait_alu 0xfffe
	v_mul_f64_e32 v[199:200], s[28:29], v[140:141]
	v_mul_f64_e32 v[140:141], s[38:39], v[140:141]
	s_mov_b32 s6, 0x2b2883cd
	s_mov_b32 s7, 0x3fdc86fa
	;; [unrolled: 1-line block ×6, first 2 shown]
	v_add_f64_e32 v[148:149], v[48:49], v[128:129]
	v_add_f64_e64 v[150:151], v[126:127], -v[54:55]
	s_mov_b32 s47, 0x3fe9895b
	s_mov_b32 s46, s30
	v_add_f64_e32 v[152:153], v[52:53], v[124:125]
	v_add_f64_e64 v[154:155], v[118:119], -v[58:59]
	s_mov_b32 s27, 0x3fefdd0d
	s_mov_b32 s26, s44
	v_add_f64_e32 v[156:157], v[56:57], v[116:117]
	v_add_f64_e32 v[136:137], v[128:129], v[136:137]
	v_fma_f64 v[233:234], v[142:143], s[14:15], v[172:173]
	v_fma_f64 v[235:236], v[142:143], s[12:13], v[174:175]
	v_fma_f64 v[174:175], v[142:143], s[12:13], -v[174:175]
	v_fma_f64 v[237:238], v[142:143], s[2:3], v[176:177]
	v_fma_f64 v[239:240], v[142:143], s[16:17], v[179:180]
	;; [unrolled: 1-line block ×4, first 2 shown]
	v_fma_f64 v[176:177], v[142:143], s[2:3], -v[176:177]
	v_fma_f64 v[181:182], v[142:143], s[18:19], -v[181:182]
	v_fma_f64 v[245:246], v[142:143], s[22:23], v[185:186]
	v_fma_f64 v[185:186], v[142:143], s[22:23], -v[185:186]
	v_fma_f64 v[183:184], v[142:143], s[20:21], -v[183:184]
	;; [unrolled: 1-line block ×3, first 2 shown]
	s_wait_alu 0xfffe
	v_fma_f64 v[247:248], v[142:143], s[6:7], -v[138:139]
	v_fma_f64 v[138:139], v[142:143], s[6:7], v[138:139]
	v_fma_f64 v[142:143], v[142:143], s[14:15], -v[172:173]
	v_mul_f64_e32 v[201:202], s[52:53], v[146:147]
	v_mul_f64_e32 v[203:204], s[30:31], v[146:147]
	;; [unrolled: 1-line block ×8, first 2 shown]
	v_fma_f64 v[4:5], v[144:145], s[12:13], v[187:188]
	v_fma_f64 v[6:7], v[144:145], s[12:13], -v[187:188]
	v_fma_f64 v[187:188], v[144:145], s[2:3], v[189:190]
	v_fma_f64 v[189:190], v[144:145], s[2:3], -v[189:190]
	;; [unrolled: 2-line block ×6, first 2 shown]
	v_fma_f64 v[16:17], v[144:145], s[6:7], v[199:200]
	v_add_f64_e32 v[136:137], v[124:125], v[136:137]
	v_fma_f64 v[18:19], v[144:145], s[6:7], -v[199:200]
	v_fma_f64 v[199:200], v[144:145], s[14:15], v[140:141]
	v_fma_f64 v[140:141], v[144:145], s[14:15], -v[140:141]
	v_add_f64_e32 v[144:145], v[76:77], v[233:234]
	v_add_f64_e32 v[233:234], v[76:77], v[235:236]
	;; [unrolled: 1-line block ×16, first 2 shown]
	v_mul_f64_e32 v[215:216], s[44:45], v[150:151]
	v_mul_f64_e32 v[217:218], s[40:41], v[150:151]
	;; [unrolled: 1-line block ×5, first 2 shown]
	v_fma_f64 v[24:25], v[148:149], s[6:7], v[201:202]
	v_fma_f64 v[26:27], v[148:149], s[6:7], -v[201:202]
	v_fma_f64 v[201:202], v[148:149], s[18:19], v[203:204]
	v_fma_f64 v[203:204], v[148:149], s[18:19], -v[203:204]
	;; [unrolled: 2-line block ×6, first 2 shown]
	v_fma_f64 v[36:37], v[148:149], s[2:3], v[213:214]
	v_add_f64_e32 v[136:137], v[116:117], v[136:137]
	v_fma_f64 v[38:39], v[148:149], s[2:3], -v[213:214]
	v_fma_f64 v[213:214], v[148:149], s[20:21], v[146:147]
	v_fma_f64 v[146:147], v[148:149], s[20:21], -v[146:147]
	v_add_f64_e32 v[4:5], v[4:5], v[144:145]
	v_add_f64_e32 v[144:145], v[187:188], v[233:234]
	;; [unrolled: 1-line block ×5, first 2 shown]
	v_mul_f64_e32 v[225:226], s[36:37], v[150:151]
	v_mul_f64_e32 v[227:228], s[46:47], v[150:151]
	v_add_f64_e32 v[187:188], v[195:196], v[239:240]
	v_add_f64_e32 v[16:17], v[16:17], v[241:242]
	v_mul_f64_e32 v[150:151], s[34:35], v[150:151]
	v_add_f64_e32 v[176:177], v[193:194], v[176:177]
	v_add_f64_e32 v[181:182], v[197:198], v[181:182]
	;; [unrolled: 1-line block ×9, first 2 shown]
	v_add_f64_e64 v[158:159], v[122:123], -v[62:63]
	v_mul_f64_e32 v[229:230], s[24:25], v[154:155]
	v_mul_f64_e32 v[231:232], s[54:55], v[154:155]
	;; [unrolled: 1-line block ×4, first 2 shown]
	v_fma_f64 v[185:186], v[152:153], s[2:3], v[215:216]
	v_fma_f64 v[191:192], v[152:153], s[2:3], -v[215:216]
	v_fma_f64 v[195:196], v[152:153], s[22:23], -v[217:218]
	v_fma_f64 v[197:198], v[152:153], s[16:17], v[219:220]
	v_fma_f64 v[199:200], v[152:153], s[16:17], -v[219:220]
	v_fma_f64 v[215:216], v[152:153], s[14:15], v[221:222]
	v_fma_f64 v[219:220], v[152:153], s[6:7], v[223:224]
	v_mul_f64_e32 v[253:254], s[26:27], v[154:155]
	v_mul_f64_e32 v[162:163], s[42:43], v[154:155]
	v_fma_f64 v[193:194], v[152:153], s[22:23], v[217:218]
	v_add_f64_e32 v[136:137], v[120:121], v[136:137]
	v_fma_f64 v[217:218], v[152:153], s[14:15], -v[221:222]
	v_fma_f64 v[221:222], v[152:153], s[6:7], -v[223:224]
	v_mul_f64_e32 v[172:173], s[34:35], v[154:155]
	v_add_f64_e32 v[4:5], v[24:25], v[4:5]
	v_add_f64_e32 v[24:25], v[201:202], v[144:145]
	;; [unrolled: 1-line block ×5, first 2 shown]
	v_fma_f64 v[223:224], v[152:153], s[20:21], v[225:226]
	v_fma_f64 v[233:234], v[152:153], s[18:19], v[227:228]
	v_add_f64_e32 v[32:33], v[209:210], v[187:188]
	v_add_f64_e32 v[16:17], v[36:37], v[16:17]
	v_mul_f64_e32 v[142:143], s[30:31], v[154:155]
	v_fma_f64 v[225:226], v[152:153], s[20:21], -v[225:226]
	v_fma_f64 v[227:228], v[152:153], s[18:19], -v[227:228]
	v_fma_f64 v[235:236], v[152:153], s[12:13], v[150:151]
	v_fma_f64 v[150:151], v[152:153], s[12:13], -v[150:151]
	v_add_f64_e32 v[152:153], v[207:208], v[176:177]
	v_add_f64_e32 v[174:175], v[211:212], v[181:182]
	;; [unrolled: 1-line block ×10, first 2 shown]
	v_add_f64_e64 v[164:165], v[110:111], -v[102:103]
	v_mul_f64_e32 v[247:248], s[50:51], v[158:159]
	v_mul_f64_e32 v[22:23], s[36:37], v[158:159]
	;; [unrolled: 1-line block ×3, first 2 shown]
	v_fma_f64 v[146:147], v[156:157], s[16:17], v[229:230]
	v_fma_f64 v[187:188], v[156:157], s[20:21], -v[231:232]
	v_fma_f64 v[201:202], v[156:157], s[6:7], v[249:250]
	v_fma_f64 v[205:206], v[156:157], s[22:23], v[251:252]
	v_mul_f64_e32 v[154:155], s[30:31], v[158:159]
	v_mul_f64_e32 v[138:139], s[48:49], v[158:159]
	v_add_f64_e32 v[136:137], v[108:109], v[136:137]
	v_mul_f64_e32 v[179:180], s[40:41], v[158:159]
	v_fma_f64 v[209:210], v[156:157], s[2:3], v[253:254]
	v_fma_f64 v[213:214], v[156:157], s[14:15], v[162:163]
	v_add_f64_e32 v[4:5], v[185:186], v[4:5]
	v_mul_f64_e32 v[20:21], s[42:43], v[158:159]
	v_add_f64_e32 v[144:145], v[195:196], v[144:145]
	v_add_f64_e32 v[148:149], v[215:216], v[148:149]
	v_add_f64_e32 v[12:13], v[219:220], v[12:13]
	v_mul_f64_e32 v[158:159], s[28:29], v[158:159]
	v_fma_f64 v[176:177], v[156:157], s[16:17], -v[229:230]
	v_add_f64_e32 v[32:33], v[223:224], v[32:33]
	v_add_f64_e32 v[16:17], v[233:234], v[16:17]
	v_fma_f64 v[181:182], v[156:157], s[20:21], v[231:232]
	v_fma_f64 v[189:190], v[156:157], s[12:13], v[172:173]
	v_fma_f64 v[172:173], v[156:157], s[12:13], -v[172:173]
	v_fma_f64 v[203:204], v[156:157], s[6:7], -v[249:250]
	;; [unrolled: 1-line block ×5, first 2 shown]
	v_fma_f64 v[229:230], v[156:157], s[18:19], v[142:143]
	v_fma_f64 v[142:143], v[156:157], s[18:19], -v[142:143]
	v_add_f64_e32 v[152:153], v[217:218], v[152:153]
	v_add_f64_e32 v[156:157], v[225:226], v[174:175]
	;; [unrolled: 1-line block ×11, first 2 shown]
	v_add_f64_e64 v[168:169], v[106:107], -v[98:99]
	v_mul_f64_e32 v[26:27], s[28:29], v[164:165]
	v_mul_f64_e32 v[34:35], s[46:47], v[164:165]
	;; [unrolled: 1-line block ×3, first 2 shown]
	v_fma_f64 v[197:198], v[160:161], s[16:17], -v[247:248]
	v_add_f64_e32 v[136:137], v[104:105], v[136:137]
	v_fma_f64 v[215:216], v[160:161], s[20:21], v[22:23]
	v_fma_f64 v[217:218], v[160:161], s[2:3], v[76:77]
	v_mul_f64_e32 v[183:184], s[36:37], v[164:165]
	v_add_f64_e32 v[4:5], v[146:147], v[4:5]
	v_mul_f64_e32 v[150:151], s[34:35], v[164:165]
	v_add_f64_e32 v[144:145], v[187:188], v[144:145]
	v_add_f64_e32 v[146:147], v[201:202], v[148:149]
	;; [unrolled: 1-line block ×3, first 2 shown]
	v_fma_f64 v[193:194], v[160:161], s[18:19], v[154:155]
	v_fma_f64 v[219:220], v[160:161], s[12:13], v[138:139]
	;; [unrolled: 1-line block ×3, first 2 shown]
	v_add_f64_e32 v[32:33], v[209:210], v[32:33]
	v_add_f64_e32 v[16:17], v[213:214], v[16:17]
	v_mul_f64_e32 v[28:29], s[44:45], v[164:165]
	v_fma_f64 v[22:23], v[160:161], s[20:21], -v[22:23]
	v_fma_f64 v[138:139], v[160:161], s[12:13], -v[138:139]
	v_fma_f64 v[223:224], v[160:161], s[6:7], v[158:159]
	v_fma_f64 v[158:159], v[160:161], s[6:7], -v[158:159]
	v_fma_f64 v[179:180], v[160:161], s[22:23], -v[179:180]
	v_fma_f64 v[76:77], v[160:161], s[2:3], -v[76:77]
	v_fma_f64 v[199:200], v[160:161], s[14:15], v[20:21]
	v_add_f64_e32 v[148:149], v[203:204], v[152:153]
	v_add_f64_e32 v[152:153], v[211:212], v[156:157]
	;; [unrolled: 1-line block ×6, first 2 shown]
	v_fma_f64 v[20:21], v[160:161], s[14:15], -v[20:21]
	v_add_f64_e32 v[10:11], v[172:173], v[10:11]
	v_fma_f64 v[195:196], v[160:161], s[16:17], v[247:248]
	v_add_f64_e32 v[24:25], v[181:182], v[24:25]
	v_add_f64_e32 v[8:9], v[189:190], v[8:9]
	v_fma_f64 v[154:155], v[160:161], s[18:19], -v[154:155]
	v_add_f64_e32 v[6:7], v[176:177], v[6:7]
	v_add_f64_e32 v[170:171], v[96:97], v[104:105]
	v_mul_f64_e32 v[174:175], s[40:41], v[168:169]
	v_mul_f64_e32 v[142:143], s[34:35], v[168:169]
	v_add_f64_e32 v[136:137], v[96:97], v[136:137]
	v_mul_f64_e32 v[156:157], s[30:31], v[168:169]
	v_fma_f64 v[181:182], v[166:167], s[6:7], v[26:27]
	v_fma_f64 v[26:27], v[166:167], s[6:7], -v[26:27]
	v_fma_f64 v[187:188], v[166:167], s[18:19], v[34:35]
	v_fma_f64 v[189:190], v[166:167], s[14:15], v[38:39]
	v_add_f64_e32 v[144:145], v[197:198], v[144:145]
	v_add_f64_e32 v[146:147], v[215:216], v[146:147]
	;; [unrolled: 1-line block ×3, first 2 shown]
	v_mul_f64_e32 v[185:186], s[38:39], v[168:169]
	v_mul_f64_e32 v[160:161], s[28:29], v[168:169]
	;; [unrolled: 1-line block ×3, first 2 shown]
	v_fma_f64 v[172:173], v[166:167], s[20:21], v[183:184]
	v_fma_f64 v[203:204], v[166:167], s[12:13], v[150:151]
	v_add_f64_e32 v[4:5], v[193:194], v[4:5]
	v_add_f64_e32 v[32:33], v[219:220], v[32:33]
	;; [unrolled: 1-line block ×3, first 2 shown]
	v_mul_f64_e32 v[191:192], s[36:37], v[168:169]
	v_mul_f64_e32 v[168:169], s[26:27], v[168:169]
	v_fma_f64 v[34:35], v[166:167], s[18:19], -v[34:35]
	v_fma_f64 v[150:151], v[166:167], s[12:13], -v[150:151]
	;; [unrolled: 1-line block ×3, first 2 shown]
	v_add_f64_e32 v[22:23], v[22:23], v[148:149]
	v_add_f64_e32 v[138:139], v[138:139], v[152:153]
	;; [unrolled: 1-line block ×6, first 2 shown]
	v_fma_f64 v[176:177], v[166:167], s[20:21], -v[183:184]
	v_fma_f64 v[183:184], v[166:167], s[2:3], v[28:29]
	v_fma_f64 v[28:29], v[166:167], s[2:3], -v[28:29]
	v_add_f64_e32 v[10:11], v[20:21], v[10:11]
	v_add_f64_e32 v[24:25], v[195:196], v[24:25]
	v_add_f64_e32 v[8:9], v[199:200], v[8:9]
	v_add_f64_e32 v[6:7], v[154:155], v[6:7]
	v_cmp_gt_u32_e64 s0, 48, v178
	v_fma_f64 v[76:77], v[170:171], s[22:23], -v[174:175]
	v_add_f64_e32 v[136:137], v[100:101], v[136:137]
	v_add_f64_e32 v[26:27], v[26:27], v[144:145]
	;; [unrolled: 1-line block ×4, first 2 shown]
	v_fma_f64 v[148:149], v[170:171], s[14:15], v[185:186]
	v_fma_f64 v[152:153], v[170:171], s[14:15], -v[185:186]
	v_fma_f64 v[179:180], v[170:171], s[6:7], v[160:161]
	v_fma_f64 v[185:186], v[170:171], s[16:17], v[162:163]
	v_fma_f64 v[160:161], v[170:171], s[6:7], -v[160:161]
	v_add_f64_e32 v[4:5], v[172:173], v[4:5]
	v_fma_f64 v[162:163], v[170:171], s[16:17], -v[162:163]
	v_add_f64_e32 v[16:17], v[203:204], v[16:17]
	v_fma_f64 v[154:155], v[170:171], s[20:21], v[191:192]
	v_fma_f64 v[158:159], v[170:171], s[20:21], -v[191:192]
	v_fma_f64 v[191:192], v[170:171], s[2:3], v[168:169]
	v_fma_f64 v[168:169], v[170:171], s[2:3], -v[168:169]
	v_add_f64_e32 v[22:23], v[34:35], v[22:23]
	v_add_f64_e32 v[18:19], v[150:151], v[18:19]
	;; [unrolled: 1-line block ×3, first 2 shown]
	v_mad_u32_u24 v150, 0x88, v178, 0
	v_add_f64_e32 v[10:11], v[28:29], v[10:11]
	v_add_f64_e32 v[24:25], v[181:182], v[24:25]
	;; [unrolled: 1-line block ×5, first 2 shown]
	v_mul_f64_e32 v[136:137], s[40:41], v[164:165]
	v_mul_f64_e32 v[164:165], s[24:25], v[164:165]
	v_add_f64_e32 v[26:27], v[152:153], v[26:27]
	v_add_f64_e32 v[16:17], v[185:186], v[16:17]
	;; [unrolled: 1-line block ×8, first 2 shown]
	v_fma_f64 v[201:202], v[166:167], s[22:23], v[136:137]
	v_fma_f64 v[136:137], v[166:167], s[22:23], -v[136:137]
	v_fma_f64 v[205:206], v[166:167], s[16:17], v[164:165]
	v_fma_f64 v[164:165], v[166:167], s[16:17], -v[164:165]
	;; [unrolled: 2-line block ×3, first 2 shown]
	v_add_f64_e32 v[30:31], v[52:53], v[30:31]
	v_add_f64_e32 v[32:33], v[201:202], v[32:33]
	;; [unrolled: 1-line block ×8, first 2 shown]
	v_fma_f64 v[30:31], v[170:171], s[22:23], v[174:175]
	v_fma_f64 v[174:175], v[170:171], s[18:19], v[156:157]
	v_fma_f64 v[156:157], v[170:171], s[18:19], -v[156:157]
	s_delay_alu instid0(VALU_DEP_4) | instskip(NEXT) | instid1(VALU_DEP_4)
	v_add_f64_e32 v[20:21], v[44:45], v[20:21]
	v_add_f64_e32 v[4:5], v[30:31], v[4:5]
	s_delay_alu instid0(VALU_DEP_4)
	v_add_f64_e32 v[12:13], v[174:175], v[12:13]
	v_add_f64_e32 v[30:31], v[179:180], v[32:33]
	;; [unrolled: 1-line block ×7, first 2 shown]
	ds_store_2addr_b64 v150, v[28:29], v[12:13] offset0:4 offset1:5
	ds_store_2addr_b64 v150, v[30:31], v[16:17] offset0:6 offset1:7
	;; [unrolled: 1-line block ×6, first 2 shown]
	ds_store_2addr_b64 v150, v[20:21], v[4:5] offset1:1
	ds_store_2addr_b64 v150, v[24:25], v[8:9] offset0:2 offset1:3
	ds_store_b64 v150, v[6:7] offset:128
	s_and_saveexec_b32 s1, s0
	s_cbranch_execz .LBB0_15
; %bb.14:
	s_clause 0x1
	scratch_load_b128 v[241:244], off, off
	scratch_load_b128 v[72:75], off, off offset:240
	scratch_store_b128 off, v[60:63], off offset:264 ; 16-byte Folded Spill
	v_dual_mov_b32 v95, v59 :: v_dual_mov_b32 v94, v58
	v_dual_mov_b32 v93, v57 :: v_dual_mov_b32 v92, v56
	;; [unrolled: 1-line block ×8, first 2 shown]
	v_add_nc_u32_e32 v177, 0x1b28, v150
	scratch_load_b128 v[60:63], off, off offset:224 ; 16-byte Folded Reload
	s_wait_loadcnt 0x1
	v_add_f64_e64 v[76:77], v[74:75], -v[243:244]
	scratch_load_b128 v[243:246], off, off offset:16 ; 16-byte Folded Reload
	v_add_f64_e32 v[136:137], v[241:242], v[72:73]
	s_delay_alu instid0(VALU_DEP_1) | instskip(NEXT) | instid1(VALU_DEP_1)
	v_mul_f64_e32 v[253:254], s[6:7], v[136:137]
	v_fma_f64 v[4:5], v[76:77], s[52:53], v[253:254]
	s_delay_alu instid0(VALU_DEP_1)
	v_add_f64_e32 v[4:5], v[0:1], v[4:5]
	s_wait_loadcnt 0x0
	v_add_f64_e32 v[140:141], v[243:244], v[60:61]
	v_add_f64_e64 v[138:139], v[62:63], -v[245:246]
	v_mul_f64_e32 v[62:63], s[12:13], v[136:137]
	s_clause 0x1
	scratch_load_b128 v[245:248], off, off offset:32
	scratch_load_b128 v[142:145], off, off offset:208
	v_mul_f64_e32 v[74:75], s[18:19], v[140:141]
	v_mul_f64_e32 v[148:149], s[2:3], v[140:141]
	;; [unrolled: 1-line block ×6, first 2 shown]
	v_fma_f64 v[6:7], v[138:139], s[30:31], v[74:75]
	v_fma_f64 v[8:9], v[138:139], s[44:45], v[148:149]
	;; [unrolled: 1-line block ×7, first 2 shown]
	v_add_f64_e32 v[4:5], v[6:7], v[4:5]
	v_fma_f64 v[6:7], v[76:77], s[48:49], v[62:63]
	s_delay_alu instid0(VALU_DEP_1) | instskip(NEXT) | instid1(VALU_DEP_1)
	v_add_f64_e32 v[6:7], v[0:1], v[6:7]
	v_add_f64_e32 v[6:7], v[8:9], v[6:7]
	v_mul_f64_e32 v[8:9], s[16:17], v[136:137]
	s_delay_alu instid0(VALU_DEP_1) | instskip(SKIP_1) | instid1(VALU_DEP_2)
	v_fma_f64 v[10:11], v[76:77], s[24:25], v[8:9]
	v_fma_f64 v[8:9], v[76:77], s[50:51], v[8:9]
	v_add_f64_e32 v[10:11], v[0:1], v[10:11]
	s_delay_alu instid0(VALU_DEP_2) | instskip(NEXT) | instid1(VALU_DEP_2)
	v_add_f64_e32 v[8:9], v[0:1], v[8:9]
	v_add_f64_e32 v[10:11], v[14:15], v[10:11]
	v_mul_f64_e32 v[14:15], s[2:3], v[136:137]
	s_wait_loadcnt 0x0
	v_add_f64_e64 v[22:23], v[144:145], -v[247:248]
	s_clause 0x1
	scratch_load_b128 v[247:250], off, off offset:48
	scratch_load_b128 v[68:71], off, off offset:192
	v_dual_mov_b32 v147, v43 :: v_dual_mov_b32 v146, v42
	v_dual_mov_b32 v145, v41 :: v_dual_mov_b32 v144, v40
	s_clause 0x1
	scratch_load_b128 v[40:43], off, off offset:80
	scratch_load_b128 v[56:59], off, off offset:160
	v_fma_f64 v[16:17], v[76:77], s[44:45], v[14:15]
	s_delay_alu instid0(VALU_DEP_1) | instskip(NEXT) | instid1(VALU_DEP_1)
	v_add_f64_e32 v[16:17], v[0:1], v[16:17]
	v_add_f64_e32 v[16:17], v[20:21], v[16:17]
	v_add_f64_e32 v[20:21], v[245:246], v[142:143]
	s_delay_alu instid0(VALU_DEP_1) | instskip(NEXT) | instid1(VALU_DEP_1)
	v_mul_f64_e32 v[24:25], s[22:23], v[20:21]
	v_fma_f64 v[26:27], v[22:23], s[56:57], v[24:25]
	s_delay_alu instid0(VALU_DEP_1) | instskip(SKIP_1) | instid1(VALU_DEP_1)
	v_add_f64_e32 v[4:5], v[26:27], v[4:5]
	v_mul_f64_e32 v[26:27], s[18:19], v[20:21]
	v_fma_f64 v[28:29], v[22:23], s[30:31], v[26:27]
	s_delay_alu instid0(VALU_DEP_1)
	v_add_f64_e32 v[6:7], v[28:29], v[6:7]
	v_mul_f64_e32 v[28:29], s[12:13], v[20:21]
	s_wait_loadcnt 0x2
	v_add_f64_e64 v[34:35], v[70:71], -v[249:250]
	s_wait_loadcnt 0x0
	v_add_f64_e64 v[157:158], v[58:59], -v[42:43]
	s_clause 0x1
	scratch_load_b128 v[42:45], off, off offset:96
	scratch_load_b128 v[64:67], off, off offset:176
	v_fma_f64 v[30:31], v[22:23], s[34:35], v[28:29]
	s_clause 0x1
	scratch_load_b128 v[48:51], off, off offset:128
	scratch_load_b128 v[52:55], off, off offset:144
	v_add_f64_e32 v[10:11], v[30:31], v[10:11]
	v_mul_f64_e32 v[30:31], s[16:17], v[20:21]
	s_delay_alu instid0(VALU_DEP_1) | instskip(NEXT) | instid1(VALU_DEP_1)
	v_fma_f64 v[32:33], v[22:23], s[50:51], v[30:31]
	v_add_f64_e32 v[16:17], v[32:33], v[16:17]
	v_add_f64_e32 v[32:33], v[247:248], v[68:69]
	s_delay_alu instid0(VALU_DEP_1) | instskip(NEXT) | instid1(VALU_DEP_1)
	v_mul_f64_e32 v[36:37], s[16:17], v[32:33]
	v_fma_f64 v[38:39], v[34:35], s[50:51], v[36:37]
	s_delay_alu instid0(VALU_DEP_1) | instskip(SKIP_1) | instid1(VALU_DEP_1)
	v_add_f64_e32 v[4:5], v[38:39], v[4:5]
	v_mul_f64_e32 v[38:39], s[22:23], v[32:33]
	v_fma_f64 v[151:152], v[34:35], s[40:41], v[38:39]
	s_delay_alu instid0(VALU_DEP_1)
	v_add_f64_e32 v[6:7], v[151:152], v[6:7]
	v_mul_f64_e32 v[151:152], s[6:7], v[32:33]
	s_wait_loadcnt 0x2
	v_add_f64_e64 v[169:170], v[66:67], -v[44:45]
	s_clause 0x1
	scratch_load_b128 v[249:252], off, off offset:64
	scratch_load_b128 v[44:47], off, off offset:112
	s_wait_loadcnt 0x2
	v_add_f64_e64 v[183:184], v[50:51], -v[54:55]
	v_fma_f64 v[153:154], v[34:35], s[52:53], v[151:152]
	s_delay_alu instid0(VALU_DEP_1) | instskip(SKIP_1) | instid1(VALU_DEP_1)
	v_add_f64_e32 v[10:11], v[153:154], v[10:11]
	v_mul_f64_e32 v[153:154], s[14:15], v[32:33]
	v_fma_f64 v[155:156], v[34:35], s[38:39], v[153:154]
	s_delay_alu instid0(VALU_DEP_1) | instskip(SKIP_1) | instid1(VALU_DEP_1)
	v_add_f64_e32 v[16:17], v[155:156], v[16:17]
	v_add_f64_e32 v[155:156], v[40:41], v[56:57]
	v_mul_f64_e32 v[159:160], s[12:13], v[155:156]
	s_delay_alu instid0(VALU_DEP_1) | instskip(NEXT) | instid1(VALU_DEP_1)
	v_fma_f64 v[161:162], v[157:158], s[34:35], v[159:160]
	v_add_f64_e32 v[4:5], v[161:162], v[4:5]
	v_mul_f64_e32 v[161:162], s[20:21], v[155:156]
	s_delay_alu instid0(VALU_DEP_1) | instskip(SKIP_2) | instid1(VALU_DEP_2)
	v_fma_f64 v[163:164], v[157:158], s[54:55], v[161:162]
	s_wait_loadcnt 0x0
	v_add_f64_e64 v[195:196], v[46:47], -v[251:252]
	v_add_f64_e32 v[6:7], v[163:164], v[6:7]
	v_mul_f64_e32 v[163:164], s[22:23], v[155:156]
	s_delay_alu instid0(VALU_DEP_1) | instskip(NEXT) | instid1(VALU_DEP_1)
	v_fma_f64 v[165:166], v[157:158], s[40:41], v[163:164]
	v_add_f64_e32 v[10:11], v[165:166], v[10:11]
	v_mul_f64_e32 v[165:166], s[6:7], v[155:156]
	s_delay_alu instid0(VALU_DEP_1) | instskip(NEXT) | instid1(VALU_DEP_1)
	v_fma_f64 v[167:168], v[157:158], s[52:53], v[165:166]
	v_add_f64_e32 v[16:17], v[167:168], v[16:17]
	v_add_f64_e32 v[167:168], v[42:43], v[64:65]
	s_delay_alu instid0(VALU_DEP_1) | instskip(NEXT) | instid1(VALU_DEP_1)
	v_mul_f64_e32 v[171:172], s[14:15], v[167:168]
	v_fma_f64 v[173:174], v[169:170], s[42:43], v[171:172]
	s_delay_alu instid0(VALU_DEP_1) | instskip(SKIP_1) | instid1(VALU_DEP_1)
	v_add_f64_e32 v[4:5], v[173:174], v[4:5]
	v_mul_f64_e32 v[173:174], s[16:17], v[167:168]
	v_fma_f64 v[175:176], v[169:170], s[50:51], v[173:174]
	s_delay_alu instid0(VALU_DEP_1) | instskip(SKIP_1) | instid1(VALU_DEP_1)
	v_add_f64_e32 v[6:7], v[175:176], v[6:7]
	;; [unrolled: 4-line block ×4, first 2 shown]
	v_add_f64_e32 v[181:182], v[52:53], v[48:49]
	v_mul_f64_e32 v[185:186], s[2:3], v[181:182]
	s_delay_alu instid0(VALU_DEP_1) | instskip(NEXT) | instid1(VALU_DEP_1)
	v_fma_f64 v[187:188], v[183:184], s[44:45], v[185:186]
	v_add_f64_e32 v[4:5], v[187:188], v[4:5]
	v_mul_f64_e32 v[187:188], s[6:7], v[181:182]
	s_delay_alu instid0(VALU_DEP_1) | instskip(NEXT) | instid1(VALU_DEP_1)
	v_fma_f64 v[189:190], v[183:184], s[28:29], v[187:188]
	;; [unrolled: 4-line block ×4, first 2 shown]
	v_add_f64_e32 v[16:17], v[193:194], v[16:17]
	v_add_f64_e32 v[193:194], v[249:250], v[44:45]
	s_delay_alu instid0(VALU_DEP_1) | instskip(NEXT) | instid1(VALU_DEP_1)
	v_mul_f64_e32 v[197:198], s[20:21], v[193:194]
	v_fma_f64 v[199:200], v[195:196], s[36:37], v[197:198]
	s_delay_alu instid0(VALU_DEP_1) | instskip(SKIP_1) | instid1(VALU_DEP_1)
	v_add_f64_e32 v[4:5], v[199:200], v[4:5]
	v_mul_f64_e32 v[199:200], s[14:15], v[193:194]
	v_fma_f64 v[201:202], v[195:196], s[38:39], v[199:200]
	s_delay_alu instid0(VALU_DEP_1) | instskip(SKIP_1) | instid1(VALU_DEP_1)
	v_add_f64_e32 v[6:7], v[201:202], v[6:7]
	;; [unrolled: 4-line block ×3, first 2 shown]
	v_mul_f64_e32 v[203:204], s[12:13], v[193:194]
	v_fma_f64 v[205:206], v[195:196], s[34:35], v[203:204]
	s_delay_alu instid0(VALU_DEP_1)
	v_add_f64_e32 v[16:17], v[205:206], v[16:17]
	v_add_nc_u32_e32 v205, 0x1b38, v150
	ds_store_2addr_b64 v177, v[6:7], v[4:5] offset1:1
	ds_store_2addr_b64 v205, v[16:17], v[10:11] offset1:1
	v_mul_f64_e32 v[4:5], s[20:21], v[136:137]
	v_mul_f64_e32 v[10:11], s[6:7], v[140:141]
	v_add_nc_u32_e32 v177, 0x1b48, v150
	s_delay_alu instid0(VALU_DEP_3) | instskip(NEXT) | instid1(VALU_DEP_3)
	v_fma_f64 v[6:7], v[76:77], s[36:37], v[4:5]
	v_fma_f64 v[16:17], v[138:139], s[28:29], v[10:11]
	v_fma_f64 v[4:5], v[76:77], s[54:55], v[4:5]
	s_delay_alu instid0(VALU_DEP_3) | instskip(NEXT) | instid1(VALU_DEP_2)
	v_add_f64_e32 v[6:7], v[0:1], v[6:7]
	v_add_f64_e32 v[4:5], v[0:1], v[4:5]
	s_delay_alu instid0(VALU_DEP_2) | instskip(SKIP_1) | instid1(VALU_DEP_1)
	v_add_f64_e32 v[6:7], v[16:17], v[6:7]
	v_mul_f64_e32 v[16:17], s[18:19], v[136:137]
	v_fma_f64 v[205:206], v[76:77], s[30:31], v[16:17]
	s_delay_alu instid0(VALU_DEP_1) | instskip(NEXT) | instid1(VALU_DEP_1)
	v_add_f64_e32 v[205:206], v[0:1], v[205:206]
	v_add_f64_e32 v[205:206], v[209:210], v[205:206]
	v_mul_f64_e32 v[209:210], s[22:23], v[136:137]
	s_delay_alu instid0(VALU_DEP_1) | instskip(SKIP_1) | instid1(VALU_DEP_2)
	v_fma_f64 v[211:212], v[76:77], s[56:57], v[209:210]
	v_fma_f64 v[209:210], v[76:77], s[40:41], v[209:210]
	v_add_f64_e32 v[211:212], v[0:1], v[211:212]
	s_delay_alu instid0(VALU_DEP_2) | instskip(NEXT) | instid1(VALU_DEP_2)
	v_add_f64_e32 v[209:210], v[0:1], v[209:210]
	v_add_f64_e32 v[211:212], v[215:216], v[211:212]
	s_delay_alu instid0(VALU_DEP_2) | instskip(SKIP_1) | instid1(VALU_DEP_1)
	v_add_f64_e32 v[209:210], v[213:214], v[209:210]
	v_mul_f64_e32 v[213:214], s[2:3], v[20:21]
	v_fma_f64 v[215:216], v[22:23], s[44:45], v[213:214]
	s_delay_alu instid0(VALU_DEP_1) | instskip(SKIP_1) | instid1(VALU_DEP_1)
	v_add_f64_e32 v[6:7], v[215:216], v[6:7]
	v_mul_f64_e32 v[215:216], s[14:15], v[20:21]
	v_fma_f64 v[217:218], v[22:23], s[42:43], v[215:216]
	s_delay_alu instid0(VALU_DEP_1) | instskip(SKIP_1) | instid1(VALU_DEP_1)
	v_add_f64_e32 v[205:206], v[217:218], v[205:206]
	v_mul_f64_e32 v[217:218], s[20:21], v[20:21]
	v_fma_f64 v[219:220], v[22:23], s[54:55], v[217:218]
	v_fma_f64 v[217:218], v[22:23], s[36:37], v[217:218]
	s_delay_alu instid0(VALU_DEP_2) | instskip(NEXT) | instid1(VALU_DEP_2)
	v_add_f64_e32 v[211:212], v[219:220], v[211:212]
	v_add_f64_e32 v[209:210], v[217:218], v[209:210]
	v_mul_f64_e32 v[217:218], s[18:19], v[32:33]
	s_delay_alu instid0(VALU_DEP_1) | instskip(NEXT) | instid1(VALU_DEP_1)
	v_fma_f64 v[219:220], v[34:35], s[46:47], v[217:218]
	v_add_f64_e32 v[6:7], v[219:220], v[6:7]
	v_mul_f64_e32 v[219:220], s[20:21], v[32:33]
	s_delay_alu instid0(VALU_DEP_1) | instskip(NEXT) | instid1(VALU_DEP_1)
	v_fma_f64 v[221:222], v[34:35], s[36:37], v[219:220]
	v_add_f64_e32 v[205:206], v[221:222], v[205:206]
	v_mul_f64_e32 v[221:222], s[12:13], v[32:33]
	s_delay_alu instid0(VALU_DEP_1) | instskip(SKIP_1) | instid1(VALU_DEP_2)
	v_fma_f64 v[223:224], v[34:35], s[48:49], v[221:222]
	v_fma_f64 v[221:222], v[34:35], s[34:35], v[221:222]
	v_add_f64_e32 v[211:212], v[223:224], v[211:212]
	s_delay_alu instid0(VALU_DEP_2) | instskip(SKIP_1) | instid1(VALU_DEP_1)
	v_add_f64_e32 v[209:210], v[221:222], v[209:210]
	v_mul_f64_e32 v[221:222], s[14:15], v[155:156]
	v_fma_f64 v[223:224], v[157:158], s[42:43], v[221:222]
	s_delay_alu instid0(VALU_DEP_1) | instskip(SKIP_1) | instid1(VALU_DEP_1)
	v_add_f64_e32 v[6:7], v[223:224], v[6:7]
	v_mul_f64_e32 v[223:224], s[2:3], v[155:156]
	v_fma_f64 v[225:226], v[157:158], s[26:27], v[223:224]
	s_delay_alu instid0(VALU_DEP_1) | instskip(SKIP_1) | instid1(VALU_DEP_1)
	v_add_f64_e32 v[205:206], v[225:226], v[205:206]
	v_mul_f64_e32 v[225:226], s[18:19], v[155:156]
	v_fma_f64 v[227:228], v[157:158], s[46:47], v[225:226]
	v_fma_f64 v[225:226], v[157:158], s[30:31], v[225:226]
	s_delay_alu instid0(VALU_DEP_2) | instskip(NEXT) | instid1(VALU_DEP_2)
	v_add_f64_e32 v[211:212], v[227:228], v[211:212]
	v_add_f64_e32 v[209:210], v[225:226], v[209:210]
	v_mul_f64_e32 v[225:226], s[22:23], v[167:168]
	s_delay_alu instid0(VALU_DEP_1) | instskip(NEXT) | instid1(VALU_DEP_1)
	v_fma_f64 v[227:228], v[169:170], s[40:41], v[225:226]
	v_add_f64_e32 v[6:7], v[227:228], v[6:7]
	v_mul_f64_e32 v[227:228], s[12:13], v[167:168]
	s_delay_alu instid0(VALU_DEP_1) | instskip(NEXT) | instid1(VALU_DEP_1)
	v_fma_f64 v[229:230], v[169:170], s[48:49], v[227:228]
	v_add_f64_e32 v[205:206], v[229:230], v[205:206]
	v_mul_f64_e32 v[229:230], s[6:7], v[167:168]
	s_delay_alu instid0(VALU_DEP_1) | instskip(SKIP_1) | instid1(VALU_DEP_2)
	v_fma_f64 v[231:232], v[169:170], s[52:53], v[229:230]
	v_fma_f64 v[229:230], v[169:170], s[28:29], v[229:230]
	;; [unrolled: 29-line block ×3, first 2 shown]
	v_add_f64_e32 v[211:212], v[239:240], v[211:212]
	s_delay_alu instid0(VALU_DEP_2)
	v_add_f64_e32 v[209:210], v[237:238], v[209:210]
	v_add_nc_u32_e32 v237, 0x1b58, v150
	ds_store_2addr_b64 v177, v[205:206], v[6:7] offset1:1
	ds_store_2addr_b64 v237, v[209:210], v[211:212] offset1:1
	v_fma_f64 v[6:7], v[138:139], s[52:53], v[10:11]
	v_fma_f64 v[10:11], v[138:139], s[24:25], v[207:208]
	s_delay_alu instid0(VALU_DEP_2) | instskip(SKIP_1) | instid1(VALU_DEP_1)
	v_add_f64_e32 v[4:5], v[6:7], v[4:5]
	v_fma_f64 v[6:7], v[76:77], s[46:47], v[16:17]
	v_add_f64_e32 v[6:7], v[0:1], v[6:7]
	s_delay_alu instid0(VALU_DEP_1) | instskip(SKIP_2) | instid1(VALU_DEP_2)
	v_add_f64_e32 v[6:7], v[10:11], v[6:7]
	v_fma_f64 v[10:11], v[138:139], s[36:37], v[12:13]
	v_fma_f64 v[12:13], v[138:139], s[56:57], v[18:19]
	v_add_f64_e32 v[8:9], v[10:11], v[8:9]
	v_fma_f64 v[10:11], v[76:77], s[26:27], v[14:15]
	s_delay_alu instid0(VALU_DEP_1) | instskip(NEXT) | instid1(VALU_DEP_1)
	v_add_f64_e32 v[10:11], v[0:1], v[10:11]
	v_add_f64_e32 v[10:11], v[12:13], v[10:11]
	v_fma_f64 v[12:13], v[22:23], s[26:27], v[213:214]
	s_delay_alu instid0(VALU_DEP_1) | instskip(SKIP_1) | instid1(VALU_DEP_1)
	v_add_f64_e32 v[4:5], v[12:13], v[4:5]
	v_fma_f64 v[12:13], v[22:23], s[38:39], v[215:216]
	v_add_f64_e32 v[6:7], v[12:13], v[6:7]
	v_fma_f64 v[12:13], v[22:23], s[48:49], v[28:29]
	s_delay_alu instid0(VALU_DEP_1) | instskip(SKIP_1) | instid1(VALU_DEP_1)
	v_add_f64_e32 v[8:9], v[12:13], v[8:9]
	v_fma_f64 v[12:13], v[22:23], s[24:25], v[30:31]
	v_add_f64_e32 v[10:11], v[12:13], v[10:11]
	v_fma_f64 v[12:13], v[34:35], s[30:31], v[217:218]
	s_delay_alu instid0(VALU_DEP_1) | instskip(SKIP_1) | instid1(VALU_DEP_1)
	v_add_f64_e32 v[4:5], v[12:13], v[4:5]
	v_fma_f64 v[12:13], v[34:35], s[54:55], v[219:220]
	v_add_f64_e32 v[6:7], v[12:13], v[6:7]
	v_fma_f64 v[12:13], v[34:35], s[28:29], v[151:152]
	s_delay_alu instid0(VALU_DEP_1) | instskip(SKIP_1) | instid1(VALU_DEP_1)
	v_add_f64_e32 v[8:9], v[12:13], v[8:9]
	v_fma_f64 v[12:13], v[34:35], s[42:43], v[153:154]
	v_add_f64_e32 v[10:11], v[12:13], v[10:11]
	v_fma_f64 v[12:13], v[157:158], s[38:39], v[221:222]
	s_delay_alu instid0(VALU_DEP_1) | instskip(SKIP_1) | instid1(VALU_DEP_1)
	v_add_f64_e32 v[4:5], v[12:13], v[4:5]
	v_fma_f64 v[12:13], v[157:158], s[44:45], v[223:224]
	v_add_f64_e32 v[6:7], v[12:13], v[6:7]
	v_fma_f64 v[12:13], v[157:158], s[56:57], v[163:164]
	s_delay_alu instid0(VALU_DEP_1) | instskip(SKIP_1) | instid1(VALU_DEP_1)
	v_add_f64_e32 v[8:9], v[12:13], v[8:9]
	v_fma_f64 v[12:13], v[157:158], s[28:29], v[165:166]
	v_add_f64_e32 v[10:11], v[12:13], v[10:11]
	v_fma_f64 v[12:13], v[169:170], s[56:57], v[225:226]
	s_delay_alu instid0(VALU_DEP_1) | instskip(SKIP_1) | instid1(VALU_DEP_1)
	v_add_f64_e32 v[4:5], v[12:13], v[4:5]
	v_fma_f64 v[12:13], v[169:170], s[34:35], v[227:228]
	v_add_f64_e32 v[6:7], v[12:13], v[6:7]
	v_fma_f64 v[12:13], v[169:170], s[44:45], v[175:176]
	s_delay_alu instid0(VALU_DEP_1) | instskip(SKIP_1) | instid1(VALU_DEP_1)
	v_add_f64_e32 v[8:9], v[12:13], v[8:9]
	v_fma_f64 v[12:13], v[169:170], s[54:55], v[179:180]
	v_add_f64_e32 v[10:11], v[12:13], v[10:11]
	v_fma_f64 v[12:13], v[183:184], s[48:49], v[229:230]
	s_delay_alu instid0(VALU_DEP_1) | instskip(SKIP_1) | instid1(VALU_DEP_1)
	v_add_f64_e32 v[4:5], v[12:13], v[4:5]
	v_fma_f64 v[12:13], v[183:184], s[56:57], v[231:232]
	v_add_f64_e32 v[6:7], v[12:13], v[6:7]
	v_fma_f64 v[12:13], v[183:184], s[38:39], v[189:190]
	s_delay_alu instid0(VALU_DEP_1) | instskip(SKIP_1) | instid1(VALU_DEP_1)
	v_add_f64_e32 v[8:9], v[12:13], v[8:9]
	v_fma_f64 v[12:13], v[183:184], s[30:31], v[191:192]
	v_add_f64_e32 v[10:11], v[12:13], v[10:11]
	v_fma_f64 v[12:13], v[195:196], s[50:51], v[233:234]
	s_delay_alu instid0(VALU_DEP_1) | instskip(SKIP_1) | instid1(VALU_DEP_1)
	v_add_f64_e32 v[4:5], v[12:13], v[4:5]
	v_fma_f64 v[12:13], v[195:196], s[52:53], v[235:236]
	v_add_f64_e32 v[6:7], v[12:13], v[6:7]
	v_fma_f64 v[12:13], v[195:196], s[46:47], v[201:202]
	s_delay_alu instid0(VALU_DEP_1) | instskip(SKIP_1) | instid1(VALU_DEP_1)
	v_add_f64_e32 v[8:9], v[12:13], v[8:9]
	v_fma_f64 v[12:13], v[195:196], s[48:49], v[203:204]
	v_add_f64_e32 v[10:11], v[12:13], v[10:11]
	v_add_nc_u32_e32 v12, 0x1b68, v150
	v_add_nc_u32_e32 v13, 0x1b78, v150
	ds_store_2addr_b64 v12, v[4:5], v[6:7] offset1:1
	ds_store_2addr_b64 v13, v[8:9], v[10:11] offset1:1
	v_fma_f64 v[4:5], v[76:77], s[28:29], v[253:254]
	v_fma_f64 v[6:7], v[138:139], s[46:47], v[74:75]
	;; [unrolled: 1-line block ×3, first 2 shown]
	v_mul_f64_e32 v[12:13], s[6:7], v[20:21]
	s_delay_alu instid0(VALU_DEP_4) | instskip(NEXT) | instid1(VALU_DEP_2)
	v_add_f64_e32 v[4:5], v[0:1], v[4:5]
	v_fma_f64 v[14:15], v[22:23], s[52:53], v[12:13]
	v_fma_f64 v[12:13], v[22:23], s[28:29], v[12:13]
	s_delay_alu instid0(VALU_DEP_3) | instskip(SKIP_1) | instid1(VALU_DEP_1)
	v_add_f64_e32 v[4:5], v[6:7], v[4:5]
	v_fma_f64 v[6:7], v[76:77], s[34:35], v[62:63]
	v_add_f64_e32 v[6:7], v[0:1], v[6:7]
	s_delay_alu instid0(VALU_DEP_1) | instskip(SKIP_1) | instid1(VALU_DEP_1)
	v_add_f64_e32 v[6:7], v[8:9], v[6:7]
	v_fma_f64 v[8:9], v[22:23], s[40:41], v[24:25]
	v_add_f64_e32 v[4:5], v[8:9], v[4:5]
	v_fma_f64 v[8:9], v[22:23], s[46:47], v[26:27]
	s_delay_alu instid0(VALU_DEP_1) | instskip(SKIP_1) | instid1(VALU_DEP_1)
	v_add_f64_e32 v[6:7], v[8:9], v[6:7]
	v_fma_f64 v[8:9], v[34:35], s[24:25], v[36:37]
	v_add_f64_e32 v[4:5], v[8:9], v[4:5]
	v_fma_f64 v[8:9], v[34:35], s[56:57], v[38:39]
	s_delay_alu instid0(VALU_DEP_1) | instskip(SKIP_1) | instid1(VALU_DEP_1)
	v_add_f64_e32 v[6:7], v[8:9], v[6:7]
	v_fma_f64 v[8:9], v[157:158], s[48:49], v[159:160]
	v_add_f64_e32 v[4:5], v[8:9], v[4:5]
	v_fma_f64 v[8:9], v[157:158], s[36:37], v[161:162]
	s_delay_alu instid0(VALU_DEP_1) | instskip(SKIP_1) | instid1(VALU_DEP_1)
	v_add_f64_e32 v[6:7], v[8:9], v[6:7]
	v_fma_f64 v[8:9], v[169:170], s[38:39], v[171:172]
	v_add_f64_e32 v[4:5], v[8:9], v[4:5]
	v_fma_f64 v[8:9], v[169:170], s[24:25], v[173:174]
	s_delay_alu instid0(VALU_DEP_1) | instskip(SKIP_1) | instid1(VALU_DEP_1)
	v_add_f64_e32 v[6:7], v[8:9], v[6:7]
	v_fma_f64 v[8:9], v[183:184], s[26:27], v[185:186]
	v_add_f64_e32 v[4:5], v[8:9], v[4:5]
	v_fma_f64 v[8:9], v[183:184], s[52:53], v[187:188]
	s_delay_alu instid0(VALU_DEP_1) | instskip(SKIP_1) | instid1(VALU_DEP_1)
	v_add_f64_e32 v[6:7], v[8:9], v[6:7]
	v_fma_f64 v[8:9], v[195:196], s[54:55], v[197:198]
	v_add_f64_e32 v[4:5], v[8:9], v[4:5]
	v_fma_f64 v[8:9], v[195:196], s[42:43], v[199:200]
	s_delay_alu instid0(VALU_DEP_1) | instskip(SKIP_4) | instid1(VALU_DEP_2)
	v_add_f64_e32 v[6:7], v[8:9], v[6:7]
	v_add_nc_u32_e32 v8, 0x1b88, v150
	ds_store_2addr_b64 v8, v[4:5], v[6:7] offset1:1
	v_mul_f64_e32 v[4:5], s[14:15], v[136:137]
	v_mul_f64_e32 v[8:9], s[12:13], v[140:141]
	v_fma_f64 v[6:7], v[76:77], s[42:43], v[4:5]
	v_fma_f64 v[4:5], v[76:77], s[38:39], v[4:5]
	s_delay_alu instid0(VALU_DEP_3) | instskip(SKIP_1) | instid1(VALU_DEP_4)
	v_fma_f64 v[10:11], v[138:139], s[48:49], v[8:9]
	v_fma_f64 v[8:9], v[138:139], s[34:35], v[8:9]
	v_add_f64_e32 v[6:7], v[0:1], v[6:7]
	s_delay_alu instid0(VALU_DEP_4) | instskip(SKIP_1) | instid1(VALU_DEP_3)
	v_add_f64_e32 v[4:5], v[0:1], v[4:5]
	v_add_f64_e32 v[0:1], v[72:73], v[0:1]
	;; [unrolled: 1-line block ×3, first 2 shown]
	s_delay_alu instid0(VALU_DEP_3) | instskip(NEXT) | instid1(VALU_DEP_3)
	v_add_f64_e32 v[4:5], v[8:9], v[4:5]
	v_add_f64_e32 v[0:1], v[60:61], v[0:1]
	scratch_load_b128 v[60:63], off, off offset:264 ; 16-byte Folded Reload
	v_mul_f64_e32 v[8:9], s[2:3], v[32:33]
	v_add_f64_e32 v[6:7], v[14:15], v[6:7]
	v_add_f64_e32 v[4:5], v[12:13], v[4:5]
	;; [unrolled: 1-line block ×3, first 2 shown]
	v_mul_f64_e32 v[12:13], s[16:17], v[155:156]
	v_fma_f64 v[10:11], v[34:35], s[44:45], v[8:9]
	v_fma_f64 v[8:9], v[34:35], s[26:27], v[8:9]
	s_delay_alu instid0(VALU_DEP_4) | instskip(NEXT) | instid1(VALU_DEP_4)
	v_add_f64_e32 v[0:1], v[68:69], v[0:1]
	v_fma_f64 v[14:15], v[157:158], s[24:25], v[12:13]
	v_fma_f64 v[12:13], v[157:158], s[50:51], v[12:13]
	v_add_f64_e32 v[6:7], v[10:11], v[6:7]
	v_add_f64_e32 v[4:5], v[8:9], v[4:5]
	v_mul_f64_e32 v[8:9], s[18:19], v[167:168]
	v_add_f64_e32 v[0:1], v[56:57], v[0:1]
	v_dual_mov_b32 v56, v92 :: v_dual_mov_b32 v59, v95
	v_add_f64_e32 v[6:7], v[14:15], v[6:7]
	v_add_f64_e32 v[4:5], v[12:13], v[4:5]
	v_fma_f64 v[10:11], v[169:170], s[30:31], v[8:9]
	v_fma_f64 v[8:9], v[169:170], s[46:47], v[8:9]
	v_mul_f64_e32 v[12:13], s[20:21], v[181:182]
	v_dual_mov_b32 v57, v93 :: v_dual_mov_b32 v58, v94
	v_add_f64_e32 v[0:1], v[64:65], v[0:1]
	v_add_f64_e32 v[6:7], v[10:11], v[6:7]
	;; [unrolled: 1-line block ×3, first 2 shown]
	v_fma_f64 v[14:15], v[183:184], s[36:37], v[12:13]
	v_mul_f64_e32 v[8:9], s[22:23], v[193:194]
	v_fma_f64 v[12:13], v[183:184], s[54:55], v[12:13]
	v_add_f64_e32 v[0:1], v[48:49], v[0:1]
	v_dual_mov_b32 v48, v84 :: v_dual_mov_b32 v51, v87
	v_dual_mov_b32 v49, v85 :: v_dual_mov_b32 v50, v86
	v_add_f64_e32 v[6:7], v[14:15], v[6:7]
	v_fma_f64 v[10:11], v[195:196], s[40:41], v[8:9]
	v_fma_f64 v[8:9], v[195:196], s[56:57], v[8:9]
	v_add_f64_e32 v[4:5], v[12:13], v[4:5]
	v_add_f64_e32 v[0:1], v[44:45], v[0:1]
	v_mov_b32_e32 v44, v80
	v_dual_mov_b32 v46, v82 :: v_dual_mov_b32 v47, v83
	v_mov_b32_e32 v45, v81
	v_add_f64_e32 v[6:7], v[10:11], v[6:7]
	v_add_f64_e32 v[4:5], v[8:9], v[4:5]
	v_add_nc_u32_e32 v8, 0x1b18, v150
	v_add_f64_e32 v[0:1], v[249:250], v[0:1]
	s_delay_alu instid0(VALU_DEP_1) | instskip(SKIP_3) | instid1(VALU_DEP_4)
	v_add_f64_e32 v[0:1], v[52:53], v[0:1]
	v_mov_b32_e32 v52, v88
	v_dual_mov_b32 v54, v90 :: v_dual_mov_b32 v53, v89
	v_mov_b32_e32 v55, v91
	v_add_f64_e32 v[0:1], v[42:43], v[0:1]
	s_delay_alu instid0(VALU_DEP_1) | instskip(SKIP_2) | instid1(VALU_DEP_3)
	v_add_f64_e32 v[0:1], v[40:41], v[0:1]
	v_dual_mov_b32 v40, v144 :: v_dual_mov_b32 v41, v145
	v_dual_mov_b32 v42, v146 :: v_dual_mov_b32 v43, v147
	v_add_f64_e32 v[0:1], v[247:248], v[0:1]
	s_delay_alu instid0(VALU_DEP_1) | instskip(NEXT) | instid1(VALU_DEP_1)
	v_add_f64_e32 v[0:1], v[245:246], v[0:1]
	v_add_f64_e32 v[0:1], v[243:244], v[0:1]
	s_delay_alu instid0(VALU_DEP_1)
	v_add_f64_e32 v[0:1], v[241:242], v[0:1]
	ds_store_2addr_b64 v8, v[0:1], v[6:7] offset1:1
	ds_store_b64 v150, v[4:5] offset:7064
.LBB0_15:
	s_wait_alu 0xfffe
	s_or_b32 exec_lo, exec_lo, s1
	v_add_f64_e32 v[0:1], v[114:115], v[78:79]
	v_add_f64_e64 v[4:5], v[112:113], -v[40:41]
	v_add_f64_e64 v[6:7], v[132:133], -v[44:45]
	v_add_f64_e32 v[12:13], v[42:43], v[114:115]
	s_wait_loadcnt 0x0
	v_add_f64_e64 v[26:27], v[120:121], -v[60:61]
	v_add_f64_e64 v[8:9], v[128:129], -v[48:49]
	v_add_f64_e32 v[14:15], v[46:47], v[134:135]
	v_add_f64_e32 v[28:29], v[102:103], v[110:111]
	v_add_f64_e64 v[34:35], v[108:109], -v[100:101]
	v_add_f64_e64 v[76:77], v[104:105], -v[96:97]
	;; [unrolled: 1-line block ×3, first 2 shown]
	v_add_f64_e32 v[16:17], v[50:51], v[130:131]
	v_add_f64_e32 v[20:21], v[58:59], v[118:119]
	v_add_f64_e64 v[22:23], v[116:117], -v[56:57]
	v_add_f64_e32 v[24:25], v[62:63], v[122:123]
	v_add_f64_e32 v[18:19], v[54:55], v[126:127]
	;; [unrolled: 1-line block ×3, first 2 shown]
	global_wb scope:SCOPE_SE
	s_wait_storecnt_dscnt 0x0
	s_barrier_signal -1
	s_barrier_wait -1
	global_inv scope:SCOPE_SE
	v_add_f64_e32 v[0:1], v[134:135], v[0:1]
	v_mul_f64_e32 v[30:31], s[42:43], v[4:5]
	v_mul_f64_e32 v[32:33], s[48:49], v[4:5]
	;; [unrolled: 1-line block ×33, first 2 shown]
	v_add_f64_e32 v[0:1], v[130:131], v[0:1]
	v_fma_f64 v[144:145], v[12:13], s[14:15], -v[30:31]
	v_fma_f64 v[146:147], v[12:13], s[12:13], -v[32:33]
	v_fma_f64 v[32:33], v[12:13], s[12:13], v[32:33]
	v_fma_f64 v[148:149], v[12:13], s[2:3], -v[36:37]
	v_fma_f64 v[36:37], v[12:13], s[2:3], v[36:37]
	v_fma_f64 v[151:152], v[12:13], s[16:17], -v[60:61]
	v_fma_f64 v[153:154], v[12:13], s[18:19], -v[72:73]
	v_fma_f64 v[72:73], v[12:13], s[18:19], v[72:73]
	v_fma_f64 v[155:156], v[12:13], s[20:21], -v[80:81]
	v_fma_f64 v[157:158], v[12:13], s[22:23], -v[84:85]
	v_fma_f64 v[84:85], v[12:13], s[22:23], v[84:85]
	v_fma_f64 v[80:81], v[12:13], s[20:21], v[80:81]
	;; [unrolled: 1-line block ×4, first 2 shown]
	v_fma_f64 v[4:5], v[12:13], s[6:7], -v[4:5]
	v_fma_f64 v[12:13], v[12:13], s[14:15], v[30:31]
	v_fma_f64 v[167:168], v[14:15], s[12:13], -v[88:89]
	v_fma_f64 v[88:89], v[14:15], s[12:13], v[88:89]
	v_fma_f64 v[169:170], v[14:15], s[2:3], -v[92:93]
	v_fma_f64 v[92:93], v[14:15], s[2:3], v[92:93]
	v_fma_f64 v[171:172], v[14:15], s[18:19], -v[96:97]
	v_fma_f64 v[96:97], v[14:15], s[18:19], v[96:97]
	v_fma_f64 v[173:174], v[14:15], s[22:23], -v[100:101]
	v_fma_f64 v[100:101], v[14:15], s[22:23], v[100:101]
	v_fma_f64 v[175:176], v[14:15], s[20:21], -v[104:105]
	v_fma_f64 v[104:105], v[14:15], s[20:21], v[104:105]
	v_fma_f64 v[179:180], v[14:15], s[16:17], -v[108:109]
	v_fma_f64 v[108:109], v[14:15], s[16:17], v[108:109]
	v_mul_f64_e32 v[130:131], s[50:51], v[10:11]
	v_fma_f64 v[187:188], v[16:17], s[6:7], -v[112:113]
	v_fma_f64 v[189:190], v[16:17], s[18:19], -v[114:115]
	v_fma_f64 v[114:115], v[16:17], s[18:19], v[114:115]
	v_fma_f64 v[195:196], v[16:17], s[12:13], -v[120:121]
	v_fma_f64 v[112:113], v[16:17], s[6:7], v[112:113]
	;; [unrolled: 2-line block ×3, first 2 shown]
	v_fma_f64 v[120:121], v[16:17], s[12:13], v[120:121]
	v_add_f64_e32 v[0:1], v[126:127], v[0:1]
	v_mul_f64_e32 v[126:127], s[44:45], v[10:11]
	v_mul_f64_e32 v[10:11], s[34:35], v[10:11]
	v_add_f64_e32 v[32:33], v[78:79], v[32:33]
	v_fma_f64 v[199:200], v[16:17], s[2:3], -v[124:125]
	v_add_f64_e32 v[36:37], v[78:79], v[36:37]
	v_fma_f64 v[124:125], v[16:17], s[2:3], v[124:125]
	v_mul_f64_e32 v[30:31], s[34:35], v[22:23]
	v_add_f64_e32 v[72:73], v[78:79], v[72:73]
	v_fma_f64 v[82:83], v[38:39], s[22:23], v[90:91]
	v_add_f64_e32 v[84:85], v[78:79], v[84:85]
	v_add_f64_e32 v[80:81], v[78:79], v[80:81]
	;; [unrolled: 1-line block ×6, first 2 shown]
	v_mul_f64_e32 v[118:119], s[50:51], v[8:9]
	v_add_f64_e32 v[32:33], v[92:93], v[32:33]
	v_add_f64_e32 v[36:37], v[100:101], v[36:37]
	;; [unrolled: 1-line block ×4, first 2 shown]
	v_mul_f64_e32 v[104:105], s[36:37], v[34:35]
	v_add_f64_e32 v[4:5], v[171:172], v[4:5]
	v_add_f64_e32 v[12:13], v[88:89], v[12:13]
	v_mul_f64_e32 v[88:89], s[26:27], v[26:27]
	v_fma_f64 v[171:172], v[20:21], s[2:3], -v[163:164]
	v_fma_f64 v[163:164], v[20:21], s[2:3], v[163:164]
	v_add_f64_e32 v[0:1], v[122:123], v[0:1]
	v_mul_f64_e32 v[122:123], s[42:43], v[8:9]
	v_mul_f64_e32 v[8:9], s[36:37], v[8:9]
	v_fma_f64 v[193:194], v[16:17], s[16:17], -v[118:119]
	v_fma_f64 v[118:119], v[16:17], s[16:17], v[118:119]
	v_add_f64_e32 v[60:61], v[120:121], v[60:61]
	v_fma_f64 v[120:121], v[20:21], s[16:17], -v[140:141]
	v_add_f64_e32 v[4:5], v[191:192], v[4:5]
	v_add_f64_e32 v[12:13], v[112:113], v[12:13]
	v_mul_f64_e32 v[112:113], s[46:47], v[34:35]
	v_add_f64_e32 v[0:1], v[110:111], v[0:1]
	v_mul_f64_e32 v[110:111], s[28:29], v[6:7]
	v_mul_f64_e32 v[6:7], s[38:39], v[6:7]
	v_fma_f64 v[197:198], v[16:17], s[14:15], -v[122:123]
	v_fma_f64 v[122:123], v[16:17], s[14:15], v[122:123]
	v_fma_f64 v[201:202], v[16:17], s[20:21], -v[8:9]
	v_fma_f64 v[8:9], v[16:17], s[20:21], v[8:9]
	v_add_f64_e32 v[36:37], v[118:119], v[36:37]
	v_mul_f64_e32 v[118:119], s[40:41], v[34:35]
	v_add_f64_e32 v[0:1], v[106:107], v[0:1]
	v_fma_f64 v[181:182], v[14:15], s[6:7], -v[110:111]
	v_fma_f64 v[110:111], v[14:15], s[6:7], v[110:111]
	v_fma_f64 v[183:184], v[14:15], s[14:15], -v[6:7]
	v_fma_f64 v[6:7], v[14:15], s[14:15], v[6:7]
	v_add_f64_e32 v[14:15], v[78:79], v[144:145]
	v_add_f64_e32 v[144:145], v[78:79], v[146:147]
	;; [unrolled: 1-line block ×8, first 2 shown]
	v_mul_f64_e32 v[106:107], s[52:53], v[22:23]
	v_mul_f64_e32 v[22:23], s[30:31], v[22:23]
	v_add_f64_e32 v[72:73], v[122:123], v[72:73]
	v_mul_f64_e32 v[78:79], s[30:31], v[26:27]
	v_mul_f64_e32 v[159:160], s[42:43], v[26:27]
	v_fma_f64 v[122:123], v[20:21], s[16:17], v[140:141]
	v_fma_f64 v[140:141], v[20:21], s[20:21], v[142:143]
	v_add_f64_e32 v[0:1], v[98:99], v[0:1]
	v_mul_f64_e32 v[98:99], s[50:51], v[26:27]
	v_add_f64_e32 v[80:81], v[110:111], v[80:81]
	v_fma_f64 v[110:111], v[18:19], s[2:3], -v[126:127]
	v_add_f64_e32 v[6:7], v[6:7], v[84:85]
	v_add_f64_e32 v[14:15], v[167:168], v[14:15]
	;; [unrolled: 1-line block ×9, first 2 shown]
	v_fma_f64 v[126:127], v[18:19], s[2:3], v[126:127]
	v_fma_f64 v[148:149], v[18:19], s[22:23], -v[128:129]
	v_fma_f64 v[128:129], v[18:19], s[22:23], v[128:129]
	v_fma_f64 v[151:152], v[18:19], s[16:17], -v[130:131]
	;; [unrolled: 2-line block ×7, first 2 shown]
	v_fma_f64 v[10:11], v[18:19], s[12:13], v[10:11]
	v_add_f64_e32 v[18:19], v[114:115], v[32:33]
	v_mul_f64_e32 v[96:97], s[48:49], v[26:27]
	v_fma_f64 v[173:174], v[20:21], s[14:15], -v[165:166]
	v_fma_f64 v[165:166], v[20:21], s[14:15], v[165:166]
	v_fma_f64 v[175:176], v[20:21], s[18:19], -v[22:23]
	v_add_nc_u32_e32 v180, 51, v178
	v_add_f64_e32 v[0:1], v[102:103], v[0:1]
	v_mul_f64_e32 v[102:103], s[40:41], v[26:27]
	v_mul_f64_e32 v[26:27], s[28:29], v[26:27]
	v_add_f64_e32 v[6:7], v[8:9], v[6:7]
	v_add_f64_e32 v[14:15], v[187:188], v[14:15]
	;; [unrolled: 1-line block ×10, first 2 shown]
	v_fma_f64 v[124:125], v[20:21], s[20:21], -v[142:143]
	v_fma_f64 v[142:143], v[20:21], s[12:13], -v[30:31]
	v_fma_f64 v[30:31], v[20:21], s[12:13], v[30:31]
	v_fma_f64 v[144:145], v[20:21], s[6:7], -v[106:107]
	v_fma_f64 v[106:107], v[20:21], s[6:7], v[106:107]
	;; [unrolled: 2-line block ×3, first 2 shown]
	v_fma_f64 v[20:21], v[20:21], s[18:19], v[22:23]
	v_add_f64_e32 v[4:5], v[151:152], v[4:5]
	v_add_f64_e32 v[72:73], v[136:137], v[72:73]
	;; [unrolled: 1-line block ×3, first 2 shown]
	v_mul_f64_e32 v[116:117], s[42:43], v[34:35]
	v_fma_f64 v[126:127], v[24:25], s[18:19], -v[78:79]
	v_fma_f64 v[78:79], v[24:25], s[18:19], v[78:79]
	v_add_f64_e32 v[18:19], v[128:129], v[18:19]
	v_fma_f64 v[128:129], v[24:25], s[16:17], -v[98:99]
	v_fma_f64 v[98:99], v[24:25], s[16:17], v[98:99]
	v_fma_f64 v[136:137], v[24:25], s[20:21], v[185:186]
	v_mul_f64_e32 v[84:85], s[28:29], v[34:35]
	v_add_f64_e32 v[0:1], v[62:63], v[0:1]
	v_fma_f64 v[151:152], v[24:25], s[22:23], -v[102:103]
	v_fma_f64 v[102:103], v[24:25], s[22:23], v[102:103]
	v_add_f64_e32 v[6:7], v[10:11], v[6:7]
	v_add_f64_e32 v[14:15], v[110:111], v[14:15]
	;; [unrolled: 1-line block ×12, first 2 shown]
	v_fma_f64 v[130:131], v[24:25], s[14:15], -v[159:160]
	v_fma_f64 v[132:133], v[24:25], s[14:15], v[159:160]
	v_fma_f64 v[134:135], v[24:25], s[20:21], -v[185:186]
	v_fma_f64 v[138:139], v[24:25], s[2:3], -v[88:89]
	v_fma_f64 v[88:89], v[24:25], s[2:3], v[88:89]
	v_fma_f64 v[148:149], v[24:25], s[12:13], -v[96:97]
	v_fma_f64 v[96:97], v[24:25], s[12:13], v[96:97]
	;; [unrolled: 2-line block ×3, first 2 shown]
	v_mul_f64_e32 v[80:81], s[34:35], v[34:35]
	v_mul_f64_e32 v[34:35], s[24:25], v[34:35]
	v_add_f64_e32 v[72:73], v[163:164], v[72:73]
	v_add_f64_e32 v[18:19], v[140:141], v[18:19]
	;; [unrolled: 1-line block ×4, first 2 shown]
	v_mul_f64_e32 v[110:111], s[38:39], v[76:77]
	v_mul_f64_e32 v[114:115], s[36:37], v[76:77]
	v_fma_f64 v[140:141], v[28:29], s[14:15], -v[116:117]
	v_fma_f64 v[122:123], v[28:29], s[2:3], -v[94:95]
	v_fma_f64 v[94:95], v[28:29], s[2:3], v[94:95]
	v_fma_f64 v[116:117], v[28:29], s[14:15], v[116:117]
	v_fma_f64 v[142:143], v[28:29], s[22:23], -v[118:119]
	v_add_f64_e32 v[0:1], v[58:59], v[0:1]
	v_fma_f64 v[118:119], v[28:29], s[22:23], v[118:119]
	v_add_f64_e32 v[6:7], v[20:21], v[6:7]
	v_add_f64_e32 v[14:15], v[120:121], v[14:15]
	;; [unrolled: 1-line block ×12, first 2 shown]
	v_mul_f64_e32 v[30:31], s[34:35], v[76:77]
	v_mul_f64_e32 v[60:61], s[30:31], v[76:77]
	v_fma_f64 v[108:109], v[28:29], s[20:21], -v[104:105]
	v_fma_f64 v[124:125], v[28:29], s[18:19], -v[112:113]
	v_fma_f64 v[112:113], v[28:29], s[18:19], v[112:113]
	v_mul_f64_e32 v[106:107], s[24:25], v[76:77]
	v_fma_f64 v[104:105], v[28:29], s[20:21], v[104:105]
	v_fma_f64 v[120:121], v[28:29], s[6:7], -v[84:85]
	v_fma_f64 v[84:85], v[28:29], s[6:7], v[84:85]
	v_fma_f64 v[144:145], v[28:29], s[12:13], -v[80:81]
	;; [unrolled: 2-line block ×3, first 2 shown]
	v_fma_f64 v[28:29], v[28:29], s[16:17], v[34:35]
	v_mul_f64_e32 v[76:77], s[26:27], v[76:77]
	v_add_f64_e32 v[18:19], v[98:99], v[18:19]
	v_add_f64_e32 v[4:5], v[130:131], v[4:5]
	;; [unrolled: 1-line block ×3, first 2 shown]
	v_fma_f64 v[98:99], v[38:39], s[14:15], v[110:111]
	v_add_f64_e32 v[0:1], v[54:55], v[0:1]
	v_add_f64_e32 v[6:7], v[24:25], v[6:7]
	;; [unrolled: 1-line block ×14, first 2 shown]
	v_fma_f64 v[24:25], v[38:39], s[22:23], -v[90:91]
	v_fma_f64 v[96:97], v[38:39], s[14:15], -v[110:111]
	;; [unrolled: 1-line block ×3, first 2 shown]
	v_fma_f64 v[102:103], v[38:39], s[20:21], v[114:115]
	v_fma_f64 v[110:111], v[38:39], s[12:13], -v[30:31]
	v_fma_f64 v[30:31], v[38:39], s[12:13], v[30:31]
	v_fma_f64 v[114:115], v[38:39], s[18:19], -v[60:61]
	v_fma_f64 v[126:127], v[38:39], s[6:7], -v[86:87]
	v_fma_f64 v[130:131], v[38:39], s[16:17], -v[106:107]
	v_fma_f64 v[60:61], v[38:39], s[18:19], v[60:61]
	v_fma_f64 v[128:129], v[38:39], s[6:7], v[86:87]
	;; [unrolled: 1-line block ×3, first 2 shown]
	v_fma_f64 v[132:133], v[38:39], s[2:3], -v[76:77]
	v_fma_f64 v[38:39], v[38:39], s[2:3], v[76:77]
	v_add_f64_e32 v[18:19], v[84:85], v[18:19]
	v_add_f64_e32 v[4:5], v[122:123], v[4:5]
	;; [unrolled: 1-line block ×17, first 2 shown]
	v_lshlrev_b32_e32 v28, 7, v178
	s_delay_alu instid0(VALU_DEP_1) | instskip(NEXT) | instid1(VALU_DEP_1)
	v_sub_nc_u32_e32 v179, v150, v28
	v_add_nc_u32_e32 v40, 0x1000, v179
	v_add_nc_u32_e32 v189, 0xc00, v179
	;; [unrolled: 1-line block ×4, first 2 shown]
	v_add_f64_e32 v[18:19], v[98:99], v[18:19]
	v_mov_b32_e32 v193, v40
	v_add_f64_e32 v[4:5], v[100:101], v[4:5]
	v_add_f64_e32 v[12:13], v[82:83], v[12:13]
	v_add_nc_u32_e32 v185, 0x1800, v179
	v_add_nc_u32_e32 v187, 0x800, v179
	ds_load_2addr_b64 v[88:91], v179 offset1:51
	v_add_f64_e32 v[0:1], v[46:47], v[0:1]
	ds_load_2addr_b64 v[84:87], v179 offset0:102 offset1:153
	ds_load_2addr_b64 v[76:79], v179 offset0:204 offset1:255
	v_add_nc_u32_e32 v192, 0x2c00, v179
	v_add_nc_u32_e32 v184, 0x1c00, v179
	v_add_f64_e32 v[6:7], v[38:39], v[6:7]
	v_add_f64_e32 v[14:15], v[24:25], v[14:15]
	;; [unrolled: 1-line block ×13, first 2 shown]
	ds_load_b64 v[132:133], v179 offset:13056
	ds_load_2addr_b64 v[60:63], v189 offset0:126 offset1:177
	ds_load_2addr_b64 v[128:131], v190 offset0:98 offset1:149
	;; [unrolled: 1-line block ×13, first 2 shown]
	global_wb scope:SCOPE_SE
	s_wait_dscnt 0x0
	s_barrier_signal -1
	s_barrier_wait -1
	global_inv scope:SCOPE_SE
	v_add_f64_e32 v[0:1], v[42:43], v[0:1]
	ds_store_2addr_b64 v150, v[22:23], v[26:27] offset0:4 offset1:5
	ds_store_2addr_b64 v150, v[28:29], v[32:33] offset0:6 offset1:7
	;; [unrolled: 1-line block ×6, first 2 shown]
	ds_store_2addr_b64 v150, v[0:1], v[14:15] offset1:1
	ds_store_2addr_b64 v150, v[16:17], v[4:5] offset0:2 offset1:3
	ds_store_b64 v150, v[12:13] offset:128
	s_and_saveexec_b32 s33, s0
	s_cbranch_execz .LBB0_17
; %bb.16:
	s_clause 0xa
	scratch_load_b128 v[6:9], off, off offset:240 th:TH_LOAD_LU
	scratch_load_b128 v[10:13], off, off offset:224 th:TH_LOAD_LU
	;; [unrolled: 1-line block ×6, first 2 shown]
	scratch_load_b128 v[236:239], off, off th:TH_LOAD_LU
	scratch_load_b128 v[240:243], off, off offset:16 th:TH_LOAD_LU
	scratch_load_b128 v[244:247], off, off offset:32 th:TH_LOAD_LU
	scratch_load_b128 v[248:251], off, off offset:48 th:TH_LOAD_LU
	scratch_load_b128 v[252:255], off, off offset:80 th:TH_LOAD_LU
	v_dual_mov_b32 v28, v184 :: v_dual_mov_b32 v33, v190
	v_mov_b32_e32 v188, v185
	s_clause 0x1
	scratch_load_b128 v[183:186], off, off offset:96 th:TH_LOAD_LU
	scratch_load_b128 v[56:59], off, off offset:128 th:TH_LOAD_LU
	s_mov_b32 s26, 0x5d8e7cdc
	s_mov_b32 s36, 0x2a9d6da3
	;; [unrolled: 1-line block ×30, first 2 shown]
	s_wait_alu 0xfffe
	s_mov_b32 s52, s28
	s_mov_b32 s48, s20
	s_mov_b32 s30, s44
	s_mov_b32 s42, s26
	s_mov_b32 s17, 0xbfe348c8
	s_mov_b32 s19, 0xbfeb34fa
	s_mov_b32 s41, 0x3fe58eea
	s_mov_b32 s40, s36
	s_mov_b32 s55, 0x3fc7851a
	s_mov_b32 s54, s38
	s_mov_b32 s51, 0x3fe9895b
	s_mov_b32 s50, s24
	s_mov_b32 s47, 0x3fefdd0d
	s_mov_b32 s46, s34
	s_wait_loadcnt 0xc
	v_add_f64_e32 v[0:1], v[8:9], v[2:3]
	s_wait_loadcnt 0x6
	v_add_f64_e32 v[4:5], v[238:239], v[8:9]
	;; [unrolled: 2-line block ×3, first 2 shown]
	v_add_f64_e64 v[10:11], v[10:11], -v[240:241]
	v_add_f64_e64 v[6:7], v[6:7], -v[236:237]
	s_wait_loadcnt 0x4
	v_add_f64_e64 v[14:15], v[14:15], -v[244:245]
	s_wait_loadcnt 0x3
	;; [unrolled: 2-line block ×4, first 2 shown]
	v_add_f64_e64 v[26:27], v[29:30], -v[183:184]
	v_dual_mov_b32 v183, v191 :: v_dual_mov_b32 v240, v192
	v_add_f64_e32 v[0:1], v[12:13], v[0:1]
	v_add_f64_e32 v[12:13], v[246:247], v[16:17]
	v_mul_f64_e32 v[52:53], s[36:37], v[10:11]
	v_mul_f64_e32 v[36:37], s[26:27], v[6:7]
	;; [unrolled: 1-line block ×8, first 2 shown]
	s_wait_alu 0xfffe
	v_mul_f64_e32 v[64:65], s[52:53], v[10:11]
	v_mul_f64_e32 v[66:67], s[48:49], v[10:11]
	v_mul_f64_e32 v[68:69], s[30:31], v[10:11]
	v_mul_f64_e32 v[70:71], s[44:45], v[14:15]
	v_mul_f64_e32 v[134:135], s[24:25], v[14:15]
	v_mul_f64_e32 v[138:139], s[48:49], v[14:15]
	v_mul_f64_e32 v[140:141], s[40:41], v[14:15]
	v_mul_f64_e32 v[136:137], s[54:55], v[14:15]
	v_mul_f64_e32 v[142:143], s[26:27], v[14:15]
	v_mul_f64_e32 v[144:145], s[34:35], v[14:15]
	v_mul_f64_e32 v[14:15], s[28:29], v[14:15]
	v_mul_f64_e32 v[146:147], s[34:35], v[18:19]
	v_mul_f64_e32 v[148:149], s[38:39], v[18:19]
	v_mul_f64_e32 v[150:151], s[48:49], v[18:19]
	v_mul_f64_e32 v[152:153], s[42:43], v[18:19]
	v_mul_f64_e32 v[154:155], s[44:45], v[18:19]
	v_mul_f64_e32 v[156:157], s[28:29], v[18:19]
	v_mul_f64_e32 v[158:159], s[50:51], v[18:19]
	v_mul_f64_e32 v[18:19], s[40:41], v[18:19]
	v_mul_f64_e32 v[160:161], s[20:21], v[22:23]
	v_mul_f64_e32 v[162:163], s[52:53], v[22:23]
	v_mul_f64_e32 v[194:195], s[44:45], v[22:23]
	v_add_f64_e32 v[0:1], v[16:17], v[0:1]
	v_add_f64_e32 v[16:17], v[250:251], v[20:21]
	v_mul_f64_e32 v[196:197], s[38:39], v[22:23]
	v_mul_f64_e32 v[198:199], s[46:47], v[22:23]
	;; [unrolled: 1-line block ×4, first 2 shown]
	v_fma_f64 v[202:203], v[8:9], s[2:3], -v[52:53]
	v_fma_f64 v[164:165], v[4:5], s[0:1], -v[36:37]
	v_fma_f64 v[166:167], v[4:5], s[2:3], -v[38:39]
	v_fma_f64 v[38:39], v[4:5], s[2:3], v[38:39]
	v_fma_f64 v[170:171], v[4:5], s[14:15], -v[44:45]
	v_fma_f64 v[172:173], v[4:5], s[16:17], -v[46:47]
	v_fma_f64 v[46:47], v[4:5], s[16:17], v[46:47]
	v_fma_f64 v[174:175], v[4:5], s[18:19], -v[48:49]
	v_fma_f64 v[176:177], v[4:5], s[22:23], -v[50:51]
	v_fma_f64 v[50:51], v[4:5], s[22:23], v[50:51]
	v_fma_f64 v[48:49], v[4:5], s[18:19], v[48:49]
	;; [unrolled: 1-line block ×4, first 2 shown]
	v_fma_f64 v[204:205], v[8:9], s[12:13], -v[54:55]
	v_fma_f64 v[54:55], v[8:9], s[12:13], v[54:55]
	v_fma_f64 v[210:211], v[8:9], s[18:19], -v[64:65]
	v_fma_f64 v[64:65], v[8:9], s[18:19], v[64:65]
	;; [unrolled: 2-line block ×4, first 2 shown]
	v_fma_f64 v[222:223], v[12:13], s[6:7], -v[70:71]
	v_fma_f64 v[224:225], v[12:13], s[16:17], -v[134:135]
	v_fma_f64 v[134:135], v[12:13], s[16:17], v[134:135]
	v_fma_f64 v[228:229], v[12:13], s[14:15], -v[138:139]
	v_fma_f64 v[138:139], v[12:13], s[14:15], v[138:139]
	;; [unrolled: 2-line block ×4, first 2 shown]
	v_add_f64_e32 v[0:1], v[20:21], v[0:1]
	v_add_f64_e32 v[20:21], v[254:255], v[24:25]
	v_fma_f64 v[140:141], v[12:13], s[2:3], v[140:141]
	v_fma_f64 v[232:233], v[12:13], s[0:1], -v[142:143]
	v_fma_f64 v[142:143], v[12:13], s[0:1], v[142:143]
	v_fma_f64 v[234:235], v[12:13], s[12:13], -v[144:145]
	;; [unrolled: 2-line block ×3, first 2 shown]
	v_fma_f64 v[12:13], v[12:13], s[18:19], v[14:15]
	v_add_f64_e32 v[38:39], v[2:3], v[38:39]
	v_add_f64_e32 v[46:47], v[2:3], v[46:47]
	v_add_f64_e32 v[50:51], v[2:3], v[50:51]
	v_add_f64_e32 v[48:49], v[2:3], v[48:49]
	v_add_f64_e32 v[44:45], v[2:3], v[44:45]
	v_add_f64_e32 v[0:1], v[24:25], v[0:1]
	v_add_f64_e32 v[24:25], v[185:186], v[31:32]
	v_add_f64_e32 v[38:39], v[54:55], v[38:39]
	v_add_f64_e32 v[46:47], v[66:67], v[46:47]
	v_add_f64_e32 v[48:49], v[68:69], v[48:49]
	v_add_f64_e32 v[44:45], v[64:65], v[44:45]
	v_fma_f64 v[68:69], v[16:17], s[12:13], -v[146:147]
	v_fma_f64 v[146:147], v[16:17], s[12:13], v[146:147]
	v_add_f64_e32 v[0:1], v[31:32], v[0:1]
	v_mov_b32_e32 v32, v189
	s_clause 0x2
	scratch_load_b128 v[189:192], off, off offset:144 th:TH_LOAD_LU
	scratch_load_b128 v[216:219], off, off offset:64 th:TH_LOAD_LU
	;; [unrolled: 1-line block ×3, first 2 shown]
	v_mov_b32_e32 v184, v28
	v_add_f64_e32 v[46:47], v[142:143], v[46:47]
	v_fma_f64 v[142:143], v[20:21], s[14:15], -v[160:161]
	v_add_f64_e32 v[44:45], v[140:141], v[44:45]
	s_wait_loadcnt 0x3
	v_add_f64_e32 v[0:1], v[58:59], v[0:1]
	s_wait_loadcnt 0x2
	;; [unrolled: 2-line block ×3, first 2 shown]
	v_add_f64_e64 v[34:35], v[40:41], -v[216:217]
	v_mul_f64_e32 v[40:41], s[34:35], v[6:7]
	v_mul_f64_e32 v[6:7], s[44:45], v[6:7]
	v_add_f64_e64 v[30:31], v[56:57], -v[189:190]
	v_mul_f64_e32 v[56:57], s[24:25], v[10:11]
	v_mul_f64_e32 v[58:59], s[38:39], v[10:11]
	;; [unrolled: 1-line block ×3, first 2 shown]
	v_add_f64_e32 v[0:1], v[42:43], v[0:1]
	v_mov_b32_e32 v190, v33
	v_fma_f64 v[168:169], v[4:5], s[12:13], -v[40:41]
	v_fma_f64 v[40:41], v[4:5], s[12:13], v[40:41]
	v_fma_f64 v[181:182], v[4:5], s[6:7], v[6:7]
	v_fma_f64 v[6:7], v[4:5], s[6:7], -v[6:7]
	v_fma_f64 v[4:5], v[4:5], s[0:1], v[36:37]
	v_fma_f64 v[206:207], v[8:9], s[16:17], -v[56:57]
	;; [unrolled: 2-line block ×4, first 2 shown]
	v_fma_f64 v[8:9], v[8:9], s[0:1], v[10:11]
	v_add_f64_e32 v[10:11], v[2:3], v[164:165]
	v_add_f64_e32 v[164:165], v[2:3], v[166:167]
	;; [unrolled: 1-line block ×3, first 2 shown]
	v_mul_f64_e32 v[36:37], s[40:41], v[22:23]
	v_mul_f64_e32 v[64:65], s[28:29], v[30:31]
	v_mul_f64_e32 v[140:141], s[38:39], v[30:31]
	v_add_f64_e32 v[166:167], v[2:3], v[168:169]
	v_add_f64_e32 v[40:41], v[2:3], v[40:41]
	;; [unrolled: 1-line block ×9, first 2 shown]
	v_mul_f64_e32 v[4:5], s[24:25], v[22:23]
	v_add_f64_e32 v[8:9], v[8:9], v[50:51]
	v_add_f64_e32 v[10:11], v[202:203], v[10:11]
	v_add_f64_e32 v[14:15], v[204:205], v[164:165]
	v_add_f64_e32 v[0:1], v[191:192], v[0:1]
	v_fma_f64 v[202:203], v[16:17], s[16:17], -v[158:159]
	v_fma_f64 v[158:159], v[16:17], s[16:17], v[158:159]
	v_fma_f64 v[204:205], v[16:17], s[2:3], -v[18:19]
	v_mul_f64_e32 v[22:23], s[24:25], v[26:27]
	v_mul_f64_e32 v[181:182], s[48:49], v[26:27]
	v_mov_b32_e32 v191, v183
	v_mov_b32_e32 v189, v32
	v_add_f64_e32 v[32:33], v[218:219], v[42:43]
	v_mul_f64_e32 v[218:219], s[26:27], v[26:27]
	v_mul_f64_e32 v[42:43], s[46:47], v[26:27]
	v_add_f64_e32 v[54:55], v[208:209], v[166:167]
	v_add_f64_e32 v[40:41], v[58:59], v[40:41]
	v_add_f64_e32 v[58:59], v[210:211], v[168:169]
	v_add_f64_e32 v[164:165], v[212:213], v[170:171]
	v_add_f64_e32 v[66:67], v[214:215], v[172:173]
	v_add_f64_e32 v[166:167], v[216:217], v[174:175]
	v_add_f64_e32 v[50:51], v[56:57], v[176:177]
	v_add_f64_e32 v[6:7], v[206:207], v[6:7]
	v_add_f64_e32 v[2:3], v[52:53], v[2:3]
	v_fma_f64 v[168:169], v[16:17], s[22:23], -v[148:149]
	v_fma_f64 v[148:149], v[16:17], s[22:23], v[148:149]
	v_fma_f64 v[170:171], v[16:17], s[14:15], -v[150:151]
	v_fma_f64 v[150:151], v[16:17], s[14:15], v[150:151]
	;; [unrolled: 2-line block ×5, first 2 shown]
	v_fma_f64 v[16:17], v[16:17], s[2:3], v[18:19]
	v_add_f64_e32 v[10:11], v[222:223], v[10:11]
	v_add_f64_e32 v[18:19], v[134:135], v[38:39]
	;; [unrolled: 1-line block ×6, first 2 shown]
	v_mul_f64_e32 v[52:53], s[36:37], v[26:27]
	v_mul_f64_e32 v[56:57], s[38:39], v[26:27]
	;; [unrolled: 1-line block ×3, first 2 shown]
	v_fma_f64 v[144:145], v[20:21], s[14:15], v[160:161]
	v_fma_f64 v[160:161], v[20:21], s[18:19], -v[162:163]
	v_fma_f64 v[162:163], v[20:21], s[18:19], v[162:163]
	v_fma_f64 v[206:207], v[20:21], s[22:23], -v[196:197]
	;; [unrolled: 2-line block ×4, first 2 shown]
	v_fma_f64 v[200:201], v[20:21], s[0:1], v[200:201]
	v_add_f64_e32 v[38:39], v[228:229], v[54:55]
	v_add_f64_e32 v[40:41], v[138:139], v[40:41]
	;; [unrolled: 1-line block ×9, first 2 shown]
	v_fma_f64 v[164:165], v[20:21], s[2:3], -v[36:37]
	v_fma_f64 v[36:37], v[20:21], s[2:3], v[36:37]
	v_fma_f64 v[166:167], v[20:21], s[6:7], -v[194:195]
	v_fma_f64 v[194:195], v[20:21], s[6:7], v[194:195]
	;; [unrolled: 2-line block ×3, first 2 shown]
	v_mul_f64_e32 v[50:51], s[30:31], v[30:31]
	v_mul_f64_e32 v[70:71], s[34:35], v[30:31]
	;; [unrolled: 1-line block ×3, first 2 shown]
	v_add_f64_e32 v[46:47], v[156:157], v[46:47]
	v_mul_f64_e32 v[138:139], s[26:27], v[30:31]
	v_add_f64_e32 v[10:11], v[68:69], v[10:11]
	v_add_f64_e32 v[18:19], v[148:149], v[18:19]
	;; [unrolled: 1-line block ×7, first 2 shown]
	v_fma_f64 v[148:149], v[24:25], s[16:17], -v[22:23]
	v_fma_f64 v[22:23], v[24:25], s[16:17], v[22:23]
	v_fma_f64 v[154:155], v[24:25], s[0:1], -v[218:219]
	v_fma_f64 v[156:157], v[24:25], s[0:1], v[218:219]
	;; [unrolled: 2-line block ×3, first 2 shown]
	v_mul_f64_e32 v[68:69], s[38:39], v[34:35]
	v_dual_mov_b32 v185, v188 :: v_dual_mov_b32 v192, v240
	v_add_f64_e32 v[20:21], v[172:173], v[38:39]
	v_add_f64_e32 v[38:39], v[152:153], v[40:41]
	;; [unrolled: 1-line block ×9, first 2 shown]
	v_mul_f64_e32 v[48:49], s[40:41], v[30:31]
	v_mul_f64_e32 v[30:31], s[20:21], v[30:31]
	v_fma_f64 v[150:151], v[24:25], s[14:15], -v[181:182]
	v_fma_f64 v[152:153], v[24:25], s[14:15], v[181:182]
	v_fma_f64 v[170:171], v[24:25], s[12:13], -v[42:43]
	v_fma_f64 v[42:43], v[24:25], s[12:13], v[42:43]
	;; [unrolled: 2-line block ×5, first 2 shown]
	v_add_f64_e32 v[10:11], v[142:143], v[10:11]
	v_add_f64_e32 v[46:47], v[198:199], v[46:47]
	;; [unrolled: 1-line block ×8, first 2 shown]
	v_mul_f64_e32 v[134:135], s[42:43], v[34:35]
	v_fma_f64 v[160:161], v[28:29], s[6:7], -v[50:51]
	v_fma_f64 v[50:51], v[28:29], s[6:7], v[50:51]
	v_fma_f64 v[162:163], v[28:29], s[12:13], -v[70:71]
	v_fma_f64 v[70:71], v[28:29], s[12:13], v[70:71]
	;; [unrolled: 2-line block ×3, first 2 shown]
	v_mul_f64_e32 v[146:147], s[28:29], v[34:35]
	v_mul_f64_e32 v[142:143], s[20:21], v[34:35]
	v_add_f64_e32 v[20:21], v[166:167], v[20:21]
	v_add_f64_e32 v[26:27], v[194:195], v[38:39]
	;; [unrolled: 1-line block ×9, first 2 shown]
	v_mul_f64_e32 v[36:37], s[40:41], v[34:35]
	v_mul_f64_e32 v[44:45], s[24:25], v[34:35]
	v_fma_f64 v[144:145], v[28:29], s[18:19], -v[64:65]
	v_fma_f64 v[64:65], v[28:29], s[18:19], v[64:65]
	v_fma_f64 v[164:165], v[28:29], s[16:17], -v[136:137]
	v_fma_f64 v[136:137], v[28:29], s[16:17], v[136:137]
	;; [unrolled: 2-line block ×5, first 2 shown]
	v_add_f64_e32 v[10:11], v[148:149], v[10:11]
	v_mul_f64_e32 v[66:67], s[30:31], v[34:35]
	v_mul_f64_e32 v[34:35], s[46:47], v[34:35]
	v_add_f64_e32 v[4:5], v[24:25], v[4:5]
	v_add_f64_e32 v[8:9], v[56:57], v[8:9]
	;; [unrolled: 1-line block ×6, first 2 shown]
	v_fma_f64 v[24:25], v[32:33], s[22:23], v[68:69]
	v_fma_f64 v[42:43], v[32:33], s[0:1], -v[134:135]
	v_fma_f64 v[56:57], v[32:33], s[18:19], -v[146:147]
	v_fma_f64 v[148:149], v[32:33], s[14:15], -v[142:143]
	v_add_f64_e32 v[20:21], v[158:159], v[20:21]
	v_add_f64_e32 v[26:27], v[168:169], v[26:27]
	;; [unrolled: 1-line block ×10, first 2 shown]
	v_fma_f64 v[22:23], v[32:33], s[22:23], -v[68:69]
	v_fma_f64 v[54:55], v[32:33], s[0:1], v[134:135]
	v_fma_f64 v[68:69], v[32:33], s[2:3], -v[36:37]
	v_fma_f64 v[36:37], v[32:33], s[2:3], v[36:37]
	;; [unrolled: 2-line block ×3, first 2 shown]
	v_fma_f64 v[44:45], v[32:33], s[16:17], v[44:45]
	v_fma_f64 v[142:143], v[32:33], s[14:15], v[142:143]
	v_add_f64_e32 v[10:11], v[144:145], v[10:11]
	v_fma_f64 v[146:147], v[32:33], s[6:7], -v[66:67]
	v_fma_f64 v[66:67], v[32:33], s[6:7], v[66:67]
	v_fma_f64 v[150:151], v[32:33], s[12:13], -v[34:35]
	v_fma_f64 v[32:33], v[32:33], s[12:13], v[34:35]
	v_add_f64_e32 v[4:5], v[28:29], v[4:5]
	v_add_f64_e32 v[8:9], v[48:49], v[8:9]
	;; [unrolled: 1-line block ×33, first 2 shown]
	v_mad_u32_u24 v24, 0x88, v180, 0
	ds_store_2addr_b64 v24, v[20:21], v[26:27] offset0:4 offset1:5
	ds_store_2addr_b64 v24, v[28:29], v[34:35] offset0:6 offset1:7
	;; [unrolled: 1-line block ×6, first 2 shown]
	ds_store_2addr_b64 v24, v[0:1], v[10:11] offset1:1
	ds_store_2addr_b64 v24, v[14:15], v[6:7] offset0:2 offset1:3
	ds_store_b64 v24, v[2:3] offset:128
.LBB0_17:
	s_or_b32 exec_lo, exec_lo, s33
	v_dual_mov_b32 v197, v193 :: v_dual_and_b32 v0, 0xff, v178
	global_wb scope:SCOPE_SE
	s_wait_dscnt 0x0
	s_barrier_signal -1
	s_barrier_wait -1
	v_mul_lo_u16 v0, 0xf1, v0
	global_inv scope:SCOPE_SE
	s_mov_b32 s0, 0xe8584caa
	s_mov_b32 s1, 0xbfebb67a
	;; [unrolled: 1-line block ×3, first 2 shown]
	v_lshrrev_b16 v30, 12, v0
	s_wait_alu 0xfffe
	s_mov_b32 s2, s0
	s_mov_b32 s6, 0x8eee2c13
	;; [unrolled: 1-line block ×4, first 2 shown]
	v_mul_lo_u16 v0, v30, 17
	v_and_b32_e32 v30, 0xffff, v30
	s_mov_b32 s14, 0xbb3a28a1
	s_mov_b32 s13, 0x3fda9628
	;; [unrolled: 1-line block ×3, first 2 shown]
	v_sub_nc_u16 v0, v178, v0
	v_mul_u32_u24_e32 v30, 0x198, v30
	s_mov_b32 s16, 0x7f775887
	s_mov_b32 s20, 0x43842ef
	s_mov_b32 s17, 0xbfe4f49e
	v_and_b32_e32 v31, 0xff, v0
	s_mov_b32 s21, 0xbfefac9e
	s_mov_b32 s24, 0x640f44db
	;; [unrolled: 1-line block ×4, first 2 shown]
	v_lshlrev_b32_e32 v4, 5, v31
	v_lshlrev_b32_e32 v31, 3, v31
	s_mov_b32 s19, 0xbfd207e7
	s_mov_b32 s23, 0x3fd207e7
	s_wait_alu 0xfffe
	s_mov_b32 s22, s18
	s_clause 0x1
	global_load_b128 v[0:3], v4, s[4:5] offset:16
	global_load_b128 v[52:55], v4, s[4:5]
	ds_load_2addr_b64 v[6:9], v190 offset0:98 offset1:149
	v_add3_u32 v175, 0, v30, v31
	s_mov_b32 s26, 0x9bcd5057
	s_mov_b32 s27, 0xbfeeb42a
	;; [unrolled: 1-line block ×11, first 2 shown]
	s_wait_alu 0xfffe
	s_mov_b32 s36, s34
	s_mov_b32 s41, 0x3fe82f19
	s_mov_b32 s40, s14
	s_wait_loadcnt_dscnt 0x100
	v_mul_f64_e32 v[4:5], v[6:7], v[2:3]
	v_mul_f64_e32 v[2:3], v[128:129], v[2:3]
	s_delay_alu instid0(VALU_DEP_2) | instskip(NEXT) | instid1(VALU_DEP_2)
	v_fma_f64 v[4:5], v[128:129], v[0:1], v[4:5]
	v_fma_f64 v[6:7], v[6:7], v[0:1], -v[2:3]
	v_and_b32_e32 v0, 0xff, v180
	s_delay_alu instid0(VALU_DEP_1) | instskip(NEXT) | instid1(VALU_DEP_1)
	v_mul_lo_u16 v0, 0xf1, v0
	v_lshrrev_b16 v50, 12, v0
	s_delay_alu instid0(VALU_DEP_1) | instskip(SKIP_1) | instid1(VALU_DEP_2)
	v_mul_lo_u16 v0, v50, 17
	v_and_b32_e32 v50, 0xffff, v50
	v_sub_nc_u16 v0, v180, v0
	s_delay_alu instid0(VALU_DEP_2) | instskip(NEXT) | instid1(VALU_DEP_2)
	v_mul_u32_u24_e32 v50, 0x198, v50
	v_and_b32_e32 v48, 0xff, v0
	s_delay_alu instid0(VALU_DEP_1)
	v_lshlrev_b32_e32 v10, 5, v48
	v_lshlrev_b32_e32 v48, 3, v48
	s_clause 0x1
	global_load_b128 v[0:3], v10, s[4:5] offset:16
	global_load_b128 v[10:13], v10, s[4:5]
	v_add3_u32 v176, 0, v50, v48
	s_wait_loadcnt 0x1
	v_mul_f64_e32 v[14:15], v[8:9], v[2:3]
	v_mul_f64_e32 v[2:3], v[130:131], v[2:3]
	s_delay_alu instid0(VALU_DEP_2) | instskip(NEXT) | instid1(VALU_DEP_2)
	v_fma_f64 v[64:65], v[130:131], v[0:1], v[14:15]
	v_fma_f64 v[66:67], v[8:9], v[0:1], -v[2:3]
	ds_load_2addr_b64 v[0:3], v193 offset0:100 offset1:151
	v_add_nc_u32_e32 v193, 0x66, v178
	s_delay_alu instid0(VALU_DEP_1) | instskip(SKIP_2) | instid1(VALU_DEP_1)
	v_and_b32_e32 v150, 0xff, v193
	s_wait_loadcnt_dscnt 0x0
	v_mul_f64_e32 v[8:9], v[0:1], v[12:13]
	v_fma_f64 v[68:69], v[124:125], v[10:11], v[8:9]
	v_mul_f64_e32 v[8:9], v[124:125], v[12:13]
	s_delay_alu instid0(VALU_DEP_1) | instskip(SKIP_1) | instid1(VALU_DEP_1)
	v_fma_f64 v[28:29], v[0:1], v[10:11], -v[8:9]
	v_mul_lo_u16 v0, 0xf1, v150
	v_lshrrev_b16 v49, 12, v0
	s_delay_alu instid0(VALU_DEP_1) | instskip(NEXT) | instid1(VALU_DEP_1)
	v_mul_lo_u16 v0, v49, 17
	v_sub_nc_u16 v0, v193, v0
	s_delay_alu instid0(VALU_DEP_1) | instskip(NEXT) | instid1(VALU_DEP_1)
	v_and_b32_e32 v51, 0xff, v0
	v_lshlrev_b32_e32 v0, 5, v51
	s_clause 0x1
	global_load_b128 v[8:11], v0, s[4:5]
	global_load_b128 v[12:15], v0, s[4:5] offset:16
	s_wait_loadcnt 0x1
	v_mul_f64_e32 v[0:1], v[2:3], v[10:11]
	s_delay_alu instid0(VALU_DEP_1) | instskip(SKIP_1) | instid1(VALU_DEP_1)
	v_fma_f64 v[70:71], v[126:127], v[8:9], v[0:1]
	v_mul_f64_e32 v[0:1], v[126:127], v[10:11]
	v_fma_f64 v[22:23], v[2:3], v[8:9], -v[0:1]
	ds_load_2addr_b64 v[0:3], v190 offset0:200 offset1:251
	s_wait_loadcnt_dscnt 0x0
	v_mul_f64_e32 v[8:9], v[0:1], v[14:15]
	s_delay_alu instid0(VALU_DEP_1) | instskip(SKIP_1) | instid1(VALU_DEP_1)
	v_fma_f64 v[124:125], v[120:121], v[12:13], v[8:9]
	v_mul_f64_e32 v[8:9], v[120:121], v[14:15]
	v_fma_f64 v[120:121], v[0:1], v[12:13], -v[8:9]
	v_add_nc_u32_e32 v1, 0x99, v178
	s_delay_alu instid0(VALU_DEP_1) | instskip(NEXT) | instid1(VALU_DEP_1)
	v_and_b32_e32 v0, 0xff, v1
	v_mul_lo_u16 v0, 0xf1, v0
	s_delay_alu instid0(VALU_DEP_1) | instskip(NEXT) | instid1(VALU_DEP_1)
	v_lshrrev_b16 v42, 12, v0
	v_mul_lo_u16 v0, v42, 17
	s_delay_alu instid0(VALU_DEP_1) | instskip(NEXT) | instid1(VALU_DEP_1)
	v_sub_nc_u16 v0, v1, v0
	v_and_b32_e32 v44, 0xff, v0
	s_delay_alu instid0(VALU_DEP_1)
	v_lshlrev_b32_e32 v0, 5, v44
	s_clause 0x1
	global_load_b128 v[8:11], v0, s[4:5] offset:16
	global_load_b128 v[12:15], v0, s[4:5]
	s_wait_loadcnt 0x1
	v_mul_f64_e32 v[0:1], v[2:3], v[10:11]
	s_delay_alu instid0(VALU_DEP_1) | instskip(SKIP_1) | instid1(VALU_DEP_1)
	v_fma_f64 v[126:127], v[122:123], v[8:9], v[0:1]
	v_mul_f64_e32 v[0:1], v[122:123], v[10:11]
	v_fma_f64 v[122:123], v[2:3], v[8:9], -v[0:1]
	ds_load_2addr_b64 v[0:3], v197 offset0:202 offset1:253
	s_wait_loadcnt_dscnt 0x0
	v_mul_f64_e32 v[8:9], v[0:1], v[14:15]
	s_delay_alu instid0(VALU_DEP_1) | instskip(SKIP_1) | instid1(VALU_DEP_1)
	v_fma_f64 v[128:129], v[116:117], v[12:13], v[8:9]
	v_mul_f64_e32 v[8:9], v[116:117], v[14:15]
	v_fma_f64 v[26:27], v[0:1], v[12:13], -v[8:9]
	v_add_nc_u32_e32 v1, 0xcc, v178
	s_delay_alu instid0(VALU_DEP_1) | instskip(NEXT) | instid1(VALU_DEP_1)
	v_and_b32_e32 v0, 0xff, v1
	v_mul_lo_u16 v0, 0xf1, v0
	s_delay_alu instid0(VALU_DEP_1) | instskip(NEXT) | instid1(VALU_DEP_1)
	v_lshrrev_b16 v45, 12, v0
	v_mul_lo_u16 v0, v45, 17
	s_delay_alu instid0(VALU_DEP_1) | instskip(NEXT) | instid1(VALU_DEP_1)
	v_sub_nc_u16 v0, v1, v0
	v_and_b32_e32 v47, 0xff, v0
	s_delay_alu instid0(VALU_DEP_1)
	v_lshlrev_b32_e32 v0, 5, v47
	s_clause 0x1
	global_load_b128 v[8:11], v0, s[4:5]
	global_load_b128 v[12:15], v0, s[4:5] offset:16
	s_wait_loadcnt 0x1
	v_mul_f64_e32 v[0:1], v[2:3], v[10:11]
	s_delay_alu instid0(VALU_DEP_1) | instskip(SKIP_1) | instid1(VALU_DEP_1)
	v_fma_f64 v[130:131], v[118:119], v[8:9], v[0:1]
	v_mul_f64_e32 v[0:1], v[118:119], v[10:11]
	v_fma_f64 v[20:21], v[2:3], v[8:9], -v[0:1]
	ds_load_2addr_b64 v[0:3], v191 offset0:46 offset1:97
	s_wait_loadcnt_dscnt 0x0
	v_mul_f64_e32 v[8:9], v[0:1], v[14:15]
	s_delay_alu instid0(VALU_DEP_1) | instskip(SKIP_1) | instid1(VALU_DEP_1)
	v_fma_f64 v[118:119], v[112:113], v[12:13], v[8:9]
	v_mul_f64_e32 v[8:9], v[112:113], v[14:15]
	v_fma_f64 v[112:113], v[0:1], v[12:13], -v[8:9]
	v_add_nc_u32_e32 v1, 0xff, v178
	s_delay_alu instid0(VALU_DEP_1) | instskip(NEXT) | instid1(VALU_DEP_1)
	v_and_b32_e32 v0, 0xffff, v1
	v_mul_u32_u24_e32 v0, 0xf0f1, v0
	s_delay_alu instid0(VALU_DEP_1) | instskip(NEXT) | instid1(VALU_DEP_1)
	v_lshrrev_b32_e32 v40, 20, v0
	v_mul_lo_u16 v0, v40, 17
	s_delay_alu instid0(VALU_DEP_1) | instskip(NEXT) | instid1(VALU_DEP_1)
	v_sub_nc_u16 v0, v1, v0
	v_and_b32_e32 v41, 0xffff, v0
	s_delay_alu instid0(VALU_DEP_1)
	v_lshlrev_b32_e32 v0, 5, v41
	s_clause 0x1
	global_load_b128 v[8:11], v0, s[4:5] offset:16
	global_load_b128 v[12:15], v0, s[4:5]
	s_wait_loadcnt 0x1
	v_mul_f64_e32 v[0:1], v[2:3], v[10:11]
	s_delay_alu instid0(VALU_DEP_1) | instskip(SKIP_1) | instid1(VALU_DEP_1)
	v_fma_f64 v[134:135], v[114:115], v[8:9], v[0:1]
	v_mul_f64_e32 v[0:1], v[114:115], v[10:11]
	v_fma_f64 v[114:115], v[2:3], v[8:9], -v[0:1]
	ds_load_2addr_b64 v[0:3], v185 offset0:48 offset1:99
	s_wait_loadcnt_dscnt 0x0
	v_mul_f64_e32 v[8:9], v[0:1], v[14:15]
	s_delay_alu instid0(VALU_DEP_1) | instskip(SKIP_1) | instid1(VALU_DEP_1)
	v_fma_f64 v[136:137], v[108:109], v[12:13], v[8:9]
	v_mul_f64_e32 v[8:9], v[108:109], v[14:15]
	v_fma_f64 v[24:25], v[0:1], v[12:13], -v[8:9]
	v_add_nc_u32_e32 v1, 0x132, v178
	s_delay_alu instid0(VALU_DEP_1) | instskip(NEXT) | instid1(VALU_DEP_1)
	v_and_b32_e32 v0, 0xffff, v1
	v_mul_u32_u24_e32 v0, 0xf0f1, v0
	s_delay_alu instid0(VALU_DEP_1) | instskip(NEXT) | instid1(VALU_DEP_1)
	v_lshrrev_b32_e32 v43, 20, v0
	v_mul_lo_u16 v0, v43, 17
	s_delay_alu instid0(VALU_DEP_1) | instskip(NEXT) | instid1(VALU_DEP_1)
	v_sub_nc_u16 v0, v1, v0
	v_and_b32_e32 v46, 0xffff, v0
	s_delay_alu instid0(VALU_DEP_1)
	v_lshlrev_b32_e32 v0, 5, v46
	s_clause 0x1
	global_load_b128 v[8:11], v0, s[4:5]
	global_load_b128 v[12:15], v0, s[4:5] offset:16
	s_wait_loadcnt 0x1
	v_mul_f64_e32 v[0:1], v[2:3], v[10:11]
	s_delay_alu instid0(VALU_DEP_1) | instskip(SKIP_1) | instid1(VALU_DEP_1)
	v_fma_f64 v[108:109], v[110:111], v[8:9], v[0:1]
	v_mul_f64_e32 v[0:1], v[110:111], v[10:11]
	v_fma_f64 v[18:19], v[2:3], v[8:9], -v[0:1]
	ds_load_2addr_b64 v[0:3], v191 offset0:148 offset1:199
	s_wait_loadcnt_dscnt 0x0
	v_mul_f64_e32 v[8:9], v[0:1], v[14:15]
	s_delay_alu instid0(VALU_DEP_1) | instskip(SKIP_1) | instid1(VALU_DEP_1)
	v_fma_f64 v[110:111], v[104:105], v[12:13], v[8:9]
	v_mul_f64_e32 v[8:9], v[104:105], v[14:15]
	v_fma_f64 v[104:105], v[0:1], v[12:13], -v[8:9]
	v_add_nc_u32_e32 v1, 0x165, v178
	s_delay_alu instid0(VALU_DEP_1) | instskip(NEXT) | instid1(VALU_DEP_1)
	v_and_b32_e32 v0, 0xffff, v1
	v_mul_u32_u24_e32 v0, 0xf0f1, v0
	s_delay_alu instid0(VALU_DEP_1) | instskip(NEXT) | instid1(VALU_DEP_1)
	v_lshrrev_b32_e32 v39, 20, v0
	v_mul_lo_u16 v0, v39, 17
	s_delay_alu instid0(VALU_DEP_1) | instskip(NEXT) | instid1(VALU_DEP_1)
	v_sub_nc_u16 v0, v1, v0
	v_and_b32_e32 v32, 0xffff, v0
	s_delay_alu instid0(VALU_DEP_1)
	v_lshlrev_b32_e32 v0, 5, v32
	s_clause 0x1
	global_load_b128 v[8:11], v0, s[4:5] offset:16
	global_load_b128 v[12:15], v0, s[4:5]
	s_wait_loadcnt 0x1
	v_mul_f64_e32 v[0:1], v[2:3], v[10:11]
	s_delay_alu instid0(VALU_DEP_1) | instskip(SKIP_1) | instid1(VALU_DEP_1)
	v_fma_f64 v[138:139], v[106:107], v[8:9], v[0:1]
	v_mul_f64_e32 v[0:1], v[106:107], v[10:11]
	v_fma_f64 v[106:107], v[2:3], v[8:9], -v[0:1]
	ds_load_2addr_b64 v[0:3], v185 offset0:150 offset1:201
	s_wait_loadcnt_dscnt 0x0
	v_mul_f64_e32 v[8:9], v[0:1], v[14:15]
	s_delay_alu instid0(VALU_DEP_1) | instskip(SKIP_1) | instid1(VALU_DEP_1)
	v_fma_f64 v[140:141], v[100:101], v[12:13], v[8:9]
	v_mul_f64_e32 v[8:9], v[100:101], v[14:15]
	v_fma_f64 v[10:11], v[0:1], v[12:13], -v[8:9]
	v_add_nc_u32_e32 v1, 0x198, v178
	s_delay_alu instid0(VALU_DEP_1) | instskip(NEXT) | instid1(VALU_DEP_1)
	v_and_b32_e32 v0, 0xffff, v1
	v_mul_u32_u24_e32 v0, 0xf0f1, v0
	s_delay_alu instid0(VALU_DEP_1) | instskip(NEXT) | instid1(VALU_DEP_1)
	v_lshrrev_b32_e32 v34, 20, v0
	;; [unrolled: 56-line block ×3, first 2 shown]
	v_mul_lo_u16 v0, v37, 17
	s_delay_alu instid0(VALU_DEP_1) | instskip(NEXT) | instid1(VALU_DEP_1)
	v_sub_nc_u16 v0, v1, v0
	v_and_b32_e32 v38, 0xffff, v0
	s_delay_alu instid0(VALU_DEP_1)
	v_lshlrev_b32_e32 v0, 5, v38
	s_clause 0x1
	global_load_b128 v[56:59], v0, s[4:5]
	global_load_b128 v[146:149], v0, s[4:5] offset:16
	s_wait_loadcnt 0x1
	v_mul_f64_e32 v[0:1], v[2:3], v[58:59]
	s_delay_alu instid0(VALU_DEP_1) | instskip(SKIP_1) | instid1(VALU_DEP_1)
	v_fma_f64 v[92:93], v[94:95], v[56:57], v[0:1]
	v_mul_f64_e32 v[0:1], v[94:95], v[58:59]
	v_fma_f64 v[12:13], v[2:3], v[56:57], -v[0:1]
	ds_load_b64 v[0:1], v179 offset:13056
	s_wait_loadcnt_dscnt 0x0
	v_mul_f64_e32 v[2:3], v[0:1], v[148:149]
	s_delay_alu instid0(VALU_DEP_1) | instskip(SKIP_1) | instid1(VALU_DEP_1)
	v_fma_f64 v[94:95], v[132:133], v[146:147], v[2:3]
	v_mul_f64_e32 v[2:3], v[132:133], v[148:149]
	v_fma_f64 v[132:133], v[0:1], v[146:147], -v[2:3]
	ds_load_2addr_b64 v[0:3], v189 offset0:126 offset1:177
	s_wait_dscnt 0x0
	v_mul_f64_e32 v[16:17], v[2:3], v[54:55]
	v_mul_f64_e32 v[54:55], v[62:63], v[54:55]
	v_add_f64_e32 v[167:168], v[0:1], v[12:13]
	s_delay_alu instid0(VALU_DEP_3) | instskip(NEXT) | instid1(VALU_DEP_3)
	v_fma_f64 v[16:17], v[62:63], v[52:53], v[16:17]
	v_fma_f64 v[2:3], v[2:3], v[52:53], -v[54:55]
	ds_load_2addr_b64 v[52:55], v179 offset1:51
	ds_load_2addr_b64 v[56:59], v179 offset0:102 offset1:153
	ds_load_2addr_b64 v[146:149], v179 offset0:204 offset1:255
	;; [unrolled: 1-line block ×4, first 2 shown]
	global_wb scope:SCOPE_SE
	s_wait_dscnt 0x0
	s_barrier_signal -1
	s_barrier_wait -1
	global_inv scope:SCOPE_SE
	v_add_f64_e32 v[161:162], v[54:55], v[28:29]
	v_add_f64_e32 v[163:164], v[58:59], v[26:27]
	;; [unrolled: 1-line block ×4, first 2 shown]
	v_add_f64_e64 v[169:170], v[16:17], -v[4:5]
	s_delay_alu instid0(VALU_DEP_3) | instskip(SKIP_1) | instid1(VALU_DEP_4)
	v_fma_f64 v[62:63], v[62:63], -0.5, v[88:89]
	v_add_f64_e64 v[88:89], v[2:3], -v[6:7]
	v_add_f64_e32 v[30:31], v[30:31], v[4:5]
	s_delay_alu instid0(VALU_DEP_2)
	v_fma_f64 v[116:117], v[88:89], s[0:1], v[62:63]
	v_fma_f64 v[62:63], v[88:89], s[2:3], v[62:63]
	v_add_f64_e32 v[88:89], v[2:3], v[6:7]
	v_add_f64_e32 v[2:3], v[52:53], v[2:3]
	ds_store_2addr_b64 v175, v[30:31], v[116:117] offset1:17
	v_add_f64_e32 v[30:31], v[68:69], v[64:65]
	v_fma_f64 v[88:89], v[88:89], -0.5, v[52:53]
	v_add_f64_e32 v[52:53], v[28:29], v[66:67]
	v_add_f64_e64 v[28:29], v[28:29], -v[66:67]
	ds_store_b64 v175, v[62:63] offset:272
	v_add_f64_e32 v[171:172], v[2:3], v[6:7]
	v_add_f64_e32 v[66:67], v[161:162], v[66:67]
	v_fma_f64 v[30:31], v[30:31], -0.5, v[90:91]
	v_add_f64_e32 v[90:91], v[90:91], v[68:69]
	v_fma_f64 v[159:160], v[52:53], -0.5, v[54:55]
	v_fma_f64 v[173:174], v[169:170], s[2:3], v[88:89]
	v_fma_f64 v[88:89], v[169:170], s[0:1], v[88:89]
	;; [unrolled: 1-line block ×4, first 2 shown]
	v_add_f64_e32 v[30:31], v[70:71], v[124:125]
	v_add_f64_e32 v[52:53], v[90:91], v[64:65]
	v_add_f64_e64 v[64:65], v[68:69], -v[64:65]
	ds_store_b64 v176, v[28:29] offset:272
	v_and_b32_e32 v28, 0xffff, v49
	v_lshlrev_b32_e32 v29, 3, v51
	v_fma_f64 v[30:31], v[30:31], -0.5, v[84:85]
	v_add_f64_e64 v[48:49], v[22:23], -v[120:121]
	ds_store_2addr_b64 v176, v[52:53], v[54:55] offset1:17
	v_mul_u32_u24_e32 v28, 0x198, v28
	v_fma_f64 v[68:69], v[64:65], s[2:3], v[159:160]
	v_fma_f64 v[64:65], v[64:65], s[0:1], v[159:160]
	s_delay_alu instid0(VALU_DEP_3)
	v_add3_u32 v177, 0, v28, v29
	v_add_f64_e32 v[28:29], v[84:85], v[70:71]
	v_add_f64_e32 v[84:85], v[56:57], v[22:23]
	v_fma_f64 v[50:51], v[48:49], s[0:1], v[30:31]
	v_fma_f64 v[30:31], v[48:49], s[2:3], v[30:31]
	v_add_f64_e32 v[48:49], v[22:23], v[120:121]
	v_add_f64_e32 v[22:23], v[26:27], v[122:123]
	;; [unrolled: 1-line block ×3, first 2 shown]
	ds_store_b64 v177, v[30:31] offset:272
	v_fma_f64 v[90:91], v[22:23], -0.5, v[58:59]
	v_and_b32_e32 v22, 0xffff, v42
	v_lshlrev_b32_e32 v23, 3, v44
	ds_store_2addr_b64 v177, v[28:29], v[50:51] offset1:17
	v_add_f64_e32 v[28:29], v[128:129], v[126:127]
	v_mul_u32_u24_e32 v22, 0x198, v22
	v_add_f64_e32 v[50:51], v[86:87], v[128:129]
	s_delay_alu instid0(VALU_DEP_2) | instskip(SKIP_4) | instid1(VALU_DEP_3)
	v_add3_u32 v180, 0, v22, v23
	v_add_f64_e64 v[22:23], v[26:27], -v[122:123]
	v_fma_f64 v[28:29], v[28:29], -0.5, v[86:87]
	v_fma_f64 v[86:87], v[48:49], -0.5, v[56:57]
	v_add_f64_e32 v[26:27], v[50:51], v[126:127]
	v_fma_f64 v[30:31], v[22:23], s[0:1], v[28:29]
	v_fma_f64 v[22:23], v[22:23], s[2:3], v[28:29]
	v_add_f64_e64 v[28:29], v[20:21], -v[112:113]
	ds_store_2addr_b64 v180, v[26:27], v[30:31] offset1:17
	v_add_f64_e32 v[26:27], v[130:131], v[118:119]
	ds_store_b64 v180, v[22:23] offset:272
	v_and_b32_e32 v22, 0xffff, v45
	v_lshlrev_b32_e32 v23, 3, v47
	s_delay_alu instid0(VALU_DEP_2) | instskip(NEXT) | instid1(VALU_DEP_1)
	v_mul_u32_u24_e32 v22, 0x198, v22
	v_add3_u32 v181, 0, v22, v23
	v_add_f64_e32 v[22:23], v[76:77], v[130:131]
	v_fma_f64 v[26:27], v[26:27], -0.5, v[76:77]
	v_add_f64_e32 v[76:77], v[146:147], v[20:21]
	s_delay_alu instid0(VALU_DEP_3) | instskip(NEXT) | instid1(VALU_DEP_3)
	v_add_f64_e32 v[22:23], v[22:23], v[118:119]
	v_fma_f64 v[30:31], v[28:29], s[0:1], v[26:27]
	v_fma_f64 v[26:27], v[28:29], s[2:3], v[26:27]
	v_add_f64_e32 v[28:29], v[20:21], v[112:113]
	v_add_f64_e32 v[20:21], v[24:25], v[114:115]
	ds_store_2addr_b64 v181, v[22:23], v[30:31] offset1:17
	v_add_f64_e32 v[22:23], v[136:137], v[134:135]
	v_add_f64_e32 v[30:31], v[78:79], v[136:137]
	ds_store_b64 v181, v[26:27] offset:272
	v_fma_f64 v[22:23], v[22:23], -0.5, v[78:79]
	v_fma_f64 v[78:79], v[28:29], -0.5, v[146:147]
	;; [unrolled: 1-line block ×3, first 2 shown]
	v_mul_u32_u24_e32 v20, 0x198, v40
	v_lshlrev_b32_e32 v21, 3, v41
	v_add_f64_e32 v[148:149], v[148:149], v[24:25]
	s_delay_alu instid0(VALU_DEP_2) | instskip(SKIP_2) | instid1(VALU_DEP_2)
	v_add3_u32 v182, 0, v20, v21
	v_add_f64_e64 v[20:21], v[24:25], -v[114:115]
	v_add_f64_e32 v[24:25], v[30:31], v[134:135]
	v_fma_f64 v[26:27], v[20:21], s[0:1], v[22:23]
	v_fma_f64 v[20:21], v[20:21], s[2:3], v[22:23]
	v_add_f64_e32 v[22:23], v[108:109], v[110:111]
	ds_store_2addr_b64 v182, v[24:25], v[26:27] offset1:17
	ds_store_b64 v182, v[20:21] offset:272
	v_mul_u32_u24_e32 v20, 0x198, v43
	v_lshlrev_b32_e32 v21, 3, v46
	v_fma_f64 v[22:23], v[22:23], -0.5, v[80:81]
	v_add_f64_e64 v[24:25], v[18:19], -v[104:105]
	s_delay_alu instid0(VALU_DEP_3) | instskip(SKIP_2) | instid1(VALU_DEP_4)
	v_add3_u32 v183, 0, v20, v21
	v_add_f64_e32 v[20:21], v[80:81], v[108:109]
	v_add_f64_e32 v[80:81], v[151:152], v[18:19]
	v_fma_f64 v[26:27], v[24:25], s[0:1], v[22:23]
	v_fma_f64 v[22:23], v[24:25], s[2:3], v[22:23]
	v_add_f64_e32 v[24:25], v[18:19], v[104:105]
	v_add_f64_e32 v[18:19], v[10:11], v[106:107]
	;; [unrolled: 1-line block ×3, first 2 shown]
	ds_store_b64 v183, v[22:23] offset:272
	ds_store_2addr_b64 v183, v[20:21], v[26:27] offset1:17
	v_add_f64_e32 v[20:21], v[140:141], v[138:139]
	v_add_f64_e32 v[26:27], v[82:83], v[140:141]
	s_delay_alu instid0(VALU_DEP_2)
	v_fma_f64 v[20:21], v[20:21], -0.5, v[82:83]
	v_fma_f64 v[82:83], v[24:25], -0.5, v[151:152]
	;; [unrolled: 1-line block ×3, first 2 shown]
	v_add_f64_e32 v[153:154], v[153:154], v[10:11]
	v_add_f64_e64 v[10:11], v[10:11], -v[106:107]
	v_mul_u32_u24_e32 v18, 0x198, v39
	v_lshlrev_b32_e32 v19, 3, v32
	s_delay_alu instid0(VALU_DEP_1)
	v_add3_u32 v186, 0, v18, v19
	v_add_f64_e32 v[18:19], v[26:27], v[138:139]
	v_fma_f64 v[22:23], v[10:11], s[0:1], v[20:21]
	v_fma_f64 v[10:11], v[10:11], s[2:3], v[20:21]
	v_add_f64_e64 v[20:21], v[8:9], -v[96:97]
	ds_store_2addr_b64 v186, v[18:19], v[22:23] offset1:17
	v_add_f64_e32 v[18:19], v[100:101], v[102:103]
	ds_store_b64 v186, v[10:11] offset:272
	v_mul_u32_u24_e32 v10, 0x198, v34
	v_lshlrev_b32_e32 v11, 3, v36
	s_delay_alu instid0(VALU_DEP_1) | instskip(SKIP_3) | instid1(VALU_DEP_3)
	v_add3_u32 v188, 0, v10, v11
	v_add_f64_e32 v[10:11], v[72:73], v[100:101]
	v_fma_f64 v[18:19], v[18:19], -0.5, v[72:73]
	v_add_f64_e32 v[72:73], v[155:156], v[8:9]
	v_add_f64_e32 v[10:11], v[10:11], v[102:103]
	s_delay_alu instid0(VALU_DEP_3)
	v_fma_f64 v[22:23], v[20:21], s[0:1], v[18:19]
	v_fma_f64 v[18:19], v[20:21], s[2:3], v[18:19]
	v_add_f64_e32 v[20:21], v[8:9], v[96:97]
	v_add_f64_e32 v[8:9], v[14:15], v[98:99]
	ds_store_2addr_b64 v188, v[10:11], v[22:23] offset1:17
	v_add_f64_e32 v[10:11], v[144:145], v[142:143]
	v_add_f64_e32 v[22:23], v[74:75], v[144:145]
	ds_store_b64 v188, v[18:19] offset:272
	v_fma_f64 v[10:11], v[10:11], -0.5, v[74:75]
	v_fma_f64 v[74:75], v[20:21], -0.5, v[155:156]
	;; [unrolled: 1-line block ×3, first 2 shown]
	v_mul_u32_u24_e32 v8, 0x198, v33
	v_lshlrev_b32_e32 v9, 3, v35
	v_add_f64_e32 v[157:158], v[157:158], v[14:15]
	s_delay_alu instid0(VALU_DEP_2) | instskip(SKIP_2) | instid1(VALU_DEP_2)
	v_add3_u32 v194, 0, v8, v9
	v_add_f64_e64 v[8:9], v[14:15], -v[98:99]
	v_add_f64_e32 v[14:15], v[22:23], v[142:143]
	v_fma_f64 v[18:19], v[8:9], s[0:1], v[10:11]
	v_fma_f64 v[8:9], v[8:9], s[2:3], v[10:11]
	v_add_f64_e32 v[10:11], v[12:13], v[132:133]
	ds_store_2addr_b64 v194, v[14:15], v[18:19] offset1:17
	v_add_f64_e32 v[14:15], v[92:93], v[94:95]
	v_fma_f64 v[165:166], v[10:11], -0.5, v[0:1]
	v_mul_u32_u24_e32 v0, 0x198, v37
	v_lshlrev_b32_e32 v1, 3, v38
	v_add_f64_e32 v[18:19], v[60:61], v[92:93]
	ds_store_b64 v194, v[8:9] offset:272
	v_add3_u32 v195, 0, v0, v1
	v_add_f64_e64 v[0:1], v[12:13], -v[132:133]
	v_fma_f64 v[14:15], v[14:15], -0.5, v[60:61]
	v_add_f64_e32 v[8:9], v[18:19], v[94:95]
	s_delay_alu instid0(VALU_DEP_2)
	v_fma_f64 v[10:11], v[0:1], s[0:1], v[14:15]
	v_fma_f64 v[0:1], v[0:1], s[2:3], v[14:15]
	ds_store_2addr_b64 v195, v[8:9], v[10:11] offset1:17
	ds_store_b64 v195, v[0:1] offset:272
	global_wb scope:SCOPE_SE
	s_wait_dscnt 0x0
	s_barrier_signal -1
	s_barrier_wait -1
	global_inv scope:SCOPE_SE
	ds_load_b64 v[116:117], v179 offset:13056
	ds_load_2addr_b64 v[4:7], v179 offset1:51
	ds_load_2addr_b64 v[0:3], v179 offset0:102 offset1:153
	ds_load_2addr_b64 v[60:63], v187 offset0:50 offset1:101
	ds_load_2addr_b64 v[40:43], v187 offset0:152 offset1:203
	ds_load_2addr_b64 v[56:59], v197 offset0:100 offset1:151
	ds_load_2addr_b64 v[32:35], v197 offset0:202 offset1:253
	ds_load_2addr_b64 v[52:55], v185 offset0:150 offset1:201
	ds_load_2addr_b64 v[24:27], v184 offset0:124 offset1:175
	ds_load_2addr_b64 v[48:51], v190 offset0:200 offset1:251
	ds_load_2addr_b64 v[16:19], v191 offset0:46 offset1:97
	ds_load_2addr_b64 v[44:47], v192 offset0:122 offset1:173
	ds_load_2addr_b64 v[8:11], v179 offset0:204 offset1:255
	ds_load_2addr_b64 v[36:39], v189 offset0:126 offset1:177
	ds_load_2addr_b64 v[28:31], v185 offset0:48 offset1:99
	ds_load_2addr_b64 v[20:23], v190 offset0:98 offset1:149
	ds_load_2addr_b64 v[12:15], v191 offset0:148 offset1:199
	global_wb scope:SCOPE_SE
	s_wait_dscnt 0x0
	s_barrier_signal -1
	s_barrier_wait -1
	global_inv scope:SCOPE_SE
	ds_store_2addr_b64 v175, v[171:172], v[173:174] offset1:17
	ds_store_b64 v175, v[88:89] offset:272
	ds_store_b64 v176, v[64:65] offset:272
	v_add_f64_e64 v[64:65], v[70:71], -v[124:125]
	ds_store_2addr_b64 v176, v[66:67], v[68:69] offset1:17
	v_add_f64_e32 v[66:67], v[84:85], v[120:121]
	v_fma_f64 v[68:69], v[64:65], s[2:3], v[86:87]
	v_fma_f64 v[64:65], v[64:65], s[0:1], v[86:87]
	ds_store_2addr_b64 v177, v[66:67], v[68:69] offset1:17
	ds_store_b64 v177, v[64:65] offset:272
	v_add_f64_e64 v[64:65], v[128:129], -v[126:127]
	v_add_f64_e32 v[66:67], v[163:164], v[122:123]
	s_delay_alu instid0(VALU_DEP_2)
	v_fma_f64 v[68:69], v[64:65], s[2:3], v[90:91]
	v_fma_f64 v[64:65], v[64:65], s[0:1], v[90:91]
	ds_store_2addr_b64 v180, v[66:67], v[68:69] offset1:17
	ds_store_b64 v180, v[64:65] offset:272
	v_add_f64_e64 v[64:65], v[130:131], -v[118:119]
	v_add_f64_e32 v[66:67], v[76:77], v[112:113]
	s_delay_alu instid0(VALU_DEP_2)
	;; [unrolled: 7-line block ×8, first 2 shown]
	v_fma_f64 v[68:69], v[64:65], s[2:3], v[165:166]
	v_fma_f64 v[64:65], v[64:65], s[0:1], v[165:166]
	ds_store_2addr_b64 v195, v[66:67], v[68:69] offset1:17
	ds_store_b64 v195, v[64:65] offset:272
	v_mul_u32_u24_e32 v64, 10, v178
	global_wb scope:SCOPE_SE
	s_wait_dscnt 0x0
	s_barrier_signal -1
	s_barrier_wait -1
	global_inv scope:SCOPE_SE
	v_lshlrev_b32_e32 v72, 4, v64
	ds_load_2addr_b64 v[68:71], v187 offset0:50 offset1:101
	s_clause 0x3
	global_load_b128 v[64:67], v72, s[4:5] offset:560
	global_load_b128 v[174:177], v72, s[4:5] offset:544
	;; [unrolled: 1-line block ×4, first 2 shown]
	s_wait_loadcnt_dscnt 0x300
	v_mul_f64_e32 v[73:74], v[68:69], v[66:67]
	s_delay_alu instid0(VALU_DEP_1) | instskip(SKIP_2) | instid1(VALU_DEP_2)
	v_fma_f64 v[78:79], v[60:61], v[64:65], v[73:74]
	v_mul_f64_e32 v[73:74], v[70:71], v[66:67]
	v_mul_f64_e32 v[60:61], v[60:61], v[66:67]
	v_fma_f64 v[128:129], v[62:63], v[64:65], v[73:74]
	v_mul_f64_e32 v[62:63], v[62:63], v[66:67]
	s_delay_alu instid0(VALU_DEP_3)
	v_fma_f64 v[82:83], v[68:69], v[64:65], -v[60:61]
	ds_load_2addr_b64 v[66:69], v197 offset0:100 offset1:151
	global_load_b128 v[74:77], v72, s[4:5] offset:576
	v_fma_f64 v[130:131], v[70:71], v[64:65], -v[62:63]
	global_load_b128 v[62:65], v72, s[4:5] offset:592
	s_wait_loadcnt_dscnt 0x0
	v_mul_f64_e32 v[60:61], v[66:67], v[64:65]
	v_mul_f64_e32 v[70:71], v[68:69], v[64:65]
	s_delay_alu instid0(VALU_DEP_2) | instskip(NEXT) | instid1(VALU_DEP_2)
	v_fma_f64 v[60:61], v[56:57], v[62:63], v[60:61]
	v_fma_f64 v[132:133], v[58:59], v[62:63], v[70:71]
	v_mul_f64_e32 v[56:57], v[56:57], v[64:65]
	v_mul_f64_e32 v[58:59], v[58:59], v[64:65]
	s_delay_alu instid0(VALU_DEP_2) | instskip(NEXT) | instid1(VALU_DEP_2)
	v_fma_f64 v[84:85], v[66:67], v[62:63], -v[56:57]
	v_fma_f64 v[136:137], v[68:69], v[62:63], -v[58:59]
	global_load_b128 v[62:65], v72, s[4:5] offset:624
	ds_load_2addr_b64 v[66:69], v185 offset0:150 offset1:201
	s_wait_loadcnt_dscnt 0x0
	v_mul_f64_e32 v[56:57], v[66:67], v[64:65]
	v_mul_f64_e32 v[58:59], v[68:69], v[64:65]
	s_delay_alu instid0(VALU_DEP_2) | instskip(NEXT) | instid1(VALU_DEP_2)
	v_fma_f64 v[56:57], v[52:53], v[62:63], v[56:57]
	v_fma_f64 v[138:139], v[54:55], v[62:63], v[58:59]
	v_mul_f64_e32 v[52:53], v[52:53], v[64:65]
	v_mul_f64_e32 v[54:55], v[54:55], v[64:65]
	s_delay_alu instid0(VALU_DEP_2) | instskip(NEXT) | instid1(VALU_DEP_2)
	v_fma_f64 v[92:93], v[66:67], v[62:63], -v[52:53]
	v_fma_f64 v[140:141], v[68:69], v[62:63], -v[54:55]
	global_load_b128 v[62:65], v72, s[4:5] offset:656
	ds_load_2addr_b64 v[66:69], v190 offset0:200 offset1:251
	s_wait_loadcnt_dscnt 0x0
	v_mul_f64_e32 v[52:53], v[66:67], v[64:65]
	v_mul_f64_e32 v[54:55], v[68:69], v[64:65]
	s_delay_alu instid0(VALU_DEP_2) | instskip(NEXT) | instid1(VALU_DEP_2)
	v_fma_f64 v[52:53], v[48:49], v[62:63], v[52:53]
	v_fma_f64 v[142:143], v[50:51], v[62:63], v[54:55]
	v_mul_f64_e32 v[48:49], v[48:49], v[64:65]
	v_mul_f64_e32 v[50:51], v[50:51], v[64:65]
	s_delay_alu instid0(VALU_DEP_2) | instskip(NEXT) | instid1(VALU_DEP_2)
	v_fma_f64 v[96:97], v[66:67], v[62:63], -v[48:49]
	v_fma_f64 v[144:145], v[68:69], v[62:63], -v[50:51]
	s_clause 0x1
	global_load_b128 v[62:65], v72, s[4:5] offset:688
	global_load_b128 v[66:69], v72, s[4:5] offset:672
	ds_load_2addr_b64 v[70:73], v192 offset0:122 offset1:173
	s_wait_loadcnt_dscnt 0x100
	v_mul_f64_e32 v[48:49], v[70:71], v[64:65]
	v_mul_f64_e32 v[50:51], v[72:73], v[64:65]
	s_delay_alu instid0(VALU_DEP_2) | instskip(SKIP_1) | instid1(VALU_DEP_3)
	v_fma_f64 v[194:195], v[44:45], v[62:63], v[48:49]
	v_mul_f64_e32 v[44:45], v[44:45], v[64:65]
	v_fma_f64 v[146:147], v[46:47], v[62:63], v[50:51]
	v_mul_f64_e32 v[46:47], v[46:47], v[64:65]
	s_delay_alu instid0(VALU_DEP_3) | instskip(SKIP_1) | instid1(VALU_DEP_3)
	v_fma_f64 v[100:101], v[70:71], v[62:63], -v[44:45]
	v_mul_lo_u16 v44, 0xa1, v150
	v_fma_f64 v[148:149], v[72:73], v[62:63], -v[46:47]
	ds_load_2addr_b64 v[62:65], v187 offset0:152 offset1:203
	v_lshrrev_b16 v44, 13, v44
	s_delay_alu instid0(VALU_DEP_1) | instskip(NEXT) | instid1(VALU_DEP_1)
	v_mul_lo_u16 v44, v44, 51
	v_sub_nc_u16 v44, v193, v44
	s_delay_alu instid0(VALU_DEP_1) | instskip(NEXT) | instid1(VALU_DEP_1)
	v_and_b32_e32 v198, 0xff, v44
	v_mul_u32_u24_e32 v44, 10, v198
	s_delay_alu instid0(VALU_DEP_1)
	v_lshlrev_b32_e32 v54, 4, v44
	s_clause 0x1
	global_load_b128 v[44:47], v54, s[4:5] offset:560
	global_load_b128 v[170:173], v54, s[4:5] offset:544
	s_wait_loadcnt_dscnt 0x100
	v_mul_f64_e32 v[50:51], v[62:63], v[46:47]
	s_delay_alu instid0(VALU_DEP_1) | instskip(SKIP_1) | instid1(VALU_DEP_1)
	v_fma_f64 v[70:71], v[40:41], v[44:45], v[50:51]
	v_mul_f64_e32 v[40:41], v[40:41], v[46:47]
	v_fma_f64 v[168:169], v[62:63], v[44:45], -v[40:41]
	v_mul_f64_e32 v[40:41], v[64:65], v[76:77]
	s_delay_alu instid0(VALU_DEP_1) | instskip(SKIP_1) | instid1(VALU_DEP_1)
	v_fma_f64 v[182:183], v[42:43], v[74:75], v[40:41]
	v_mul_f64_e32 v[42:43], v[42:43], v[76:77]
	v_fma_f64 v[108:109], v[64:65], v[74:75], -v[42:43]
	ds_load_2addr_b64 v[42:45], v189 offset0:126 offset1:177
	s_clause 0x1
	global_load_b128 v[62:65], v54, s[4:5] offset:576
	global_load_b128 v[110:113], v54, s[4:5] offset:592
	s_wait_dscnt 0x0
	v_mul_f64_e32 v[46:47], v[42:43], v[76:77]
	s_delay_alu instid0(VALU_DEP_1) | instskip(SKIP_1) | instid1(VALU_DEP_1)
	v_fma_f64 v[150:151], v[36:37], v[74:75], v[46:47]
	v_mul_f64_e32 v[36:37], v[36:37], v[76:77]
	v_fma_f64 v[152:153], v[42:43], v[74:75], -v[36:37]
	s_wait_loadcnt 0x1
	v_mul_f64_e32 v[36:37], v[44:45], v[64:65]
	s_delay_alu instid0(VALU_DEP_1) | instskip(SKIP_1) | instid1(VALU_DEP_1)
	v_fma_f64 v[72:73], v[38:39], v[62:63], v[36:37]
	v_mul_f64_e32 v[36:37], v[38:39], v[64:65]
	v_fma_f64 v[40:41], v[44:45], v[62:63], -v[36:37]
	ds_load_2addr_b64 v[36:39], v197 offset0:202 offset1:253
	s_wait_loadcnt_dscnt 0x0
	v_mul_f64_e32 v[42:43], v[36:37], v[112:113]
	s_delay_alu instid0(VALU_DEP_1) | instskip(SKIP_1) | instid1(VALU_DEP_1)
	v_fma_f64 v[75:76], v[32:33], v[110:111], v[42:43]
	v_mul_f64_e32 v[32:33], v[32:33], v[112:113]
	v_fma_f64 v[48:49], v[36:37], v[110:111], -v[32:33]
	v_mul_f64_e32 v[32:33], v[38:39], v[88:89]
	s_delay_alu instid0(VALU_DEP_1)
	v_fma_f64 v[180:181], v[34:35], v[86:87], v[32:33]
	v_mul_f64_e32 v[34:35], v[34:35], v[88:89]
	v_dual_mov_b32 v32, v168 :: v_dual_mov_b32 v33, v169
	v_dual_mov_b32 v169, v73 :: v_dual_mov_b32 v168, v72
	v_mov_b32_e32 v72, v187
	v_mov_b32_e32 v188, v193
	v_fma_f64 v[120:121], v[38:39], v[86:87], -v[34:35]
	ds_load_2addr_b64 v[34:37], v185 offset0:48 offset1:99
	s_clause 0x1
	global_load_b128 v[42:45], v54, s[4:5] offset:608
	global_load_b128 v[62:65], v54, s[4:5] offset:624
	s_wait_dscnt 0x0
	v_mul_f64_e32 v[38:39], v[34:35], v[88:89]
	s_delay_alu instid0(VALU_DEP_1) | instskip(SKIP_1) | instid1(VALU_DEP_1)
	v_fma_f64 v[154:155], v[28:29], v[86:87], v[38:39]
	v_mul_f64_e32 v[28:29], v[28:29], v[88:89]
	v_fma_f64 v[156:157], v[34:35], v[86:87], -v[28:29]
	s_wait_loadcnt 0x1
	v_mul_f64_e32 v[28:29], v[36:37], v[44:45]
	s_delay_alu instid0(VALU_DEP_1) | instskip(SKIP_1) | instid1(VALU_DEP_1)
	v_fma_f64 v[86:87], v[30:31], v[42:43], v[28:29]
	v_mul_f64_e32 v[28:29], v[30:31], v[44:45]
	v_fma_f64 v[90:91], v[36:37], v[42:43], -v[28:29]
	ds_load_2addr_b64 v[28:31], v184 offset0:124 offset1:175
	s_wait_loadcnt_dscnt 0x0
	v_mul_f64_e32 v[34:35], v[28:29], v[64:65]
	s_delay_alu instid0(VALU_DEP_1) | instskip(SKIP_1) | instid1(VALU_DEP_1)
	v_fma_f64 v[88:89], v[24:25], v[62:63], v[34:35]
	v_mul_f64_e32 v[24:25], v[24:25], v[64:65]
	v_fma_f64 v[94:95], v[28:29], v[62:63], -v[24:25]
	v_mul_f64_e32 v[24:25], v[30:31], v[104:105]
	s_delay_alu instid0(VALU_DEP_1) | instskip(SKIP_2) | instid1(VALU_DEP_2)
	v_fma_f64 v[80:81], v[26:27], v[102:103], v[24:25]
	v_mul_f64_e32 v[26:27], v[26:27], v[104:105]
	v_dual_mov_b32 v24, v75 :: v_dual_mov_b32 v25, v76
	v_fma_f64 v[124:125], v[30:31], v[102:103], -v[26:27]
	ds_load_2addr_b64 v[26:29], v190 offset0:98 offset1:149
	s_clause 0x1
	global_load_b128 v[34:37], v54, s[4:5] offset:640
	global_load_b128 v[42:45], v54, s[4:5] offset:656
	s_wait_dscnt 0x0
	v_mul_f64_e32 v[30:31], v[26:27], v[104:105]
	s_delay_alu instid0(VALU_DEP_1) | instskip(SKIP_1) | instid1(VALU_DEP_1)
	v_fma_f64 v[158:159], v[20:21], v[102:103], v[30:31]
	v_mul_f64_e32 v[20:21], v[20:21], v[104:105]
	v_fma_f64 v[160:161], v[26:27], v[102:103], -v[20:21]
	s_wait_loadcnt 0x1
	v_mul_f64_e32 v[20:21], v[28:29], v[36:37]
	s_delay_alu instid0(VALU_DEP_1) | instskip(SKIP_1) | instid1(VALU_DEP_1)
	v_fma_f64 v[98:99], v[22:23], v[34:35], v[20:21]
	v_mul_f64_e32 v[20:21], v[22:23], v[36:37]
	v_fma_f64 v[102:103], v[28:29], v[34:35], -v[20:21]
	ds_load_2addr_b64 v[20:23], v191 offset0:46 offset1:97
	s_wait_loadcnt_dscnt 0x0
	v_mul_f64_e32 v[26:27], v[20:21], v[44:45]
	s_delay_alu instid0(VALU_DEP_1) | instskip(SKIP_1) | instid1(VALU_DEP_1)
	v_fma_f64 v[104:105], v[16:17], v[42:43], v[26:27]
	v_mul_f64_e32 v[16:17], v[16:17], v[44:45]
	v_fma_f64 v[106:107], v[20:21], v[42:43], -v[16:17]
	v_mul_f64_e32 v[16:17], v[22:23], v[68:69]
	v_add_f64_e64 v[42:43], v[120:121], -v[92:93]
	s_delay_alu instid0(VALU_DEP_2) | instskip(SKIP_1) | instid1(VALU_DEP_1)
	v_fma_f64 v[16:17], v[18:19], v[66:67], v[16:17]
	v_mul_f64_e32 v[18:19], v[18:19], v[68:69]
	v_fma_f64 v[126:127], v[22:23], v[66:67], -v[18:19]
	ds_load_2addr_b64 v[18:21], v191 offset0:148 offset1:199
	s_clause 0x1
	global_load_b128 v[26:29], v54, s[4:5] offset:672
	global_load_b128 v[34:37], v54, s[4:5] offset:688
	s_wait_dscnt 0x0
	v_mul_f64_e32 v[22:23], v[18:19], v[68:69]
	s_delay_alu instid0(VALU_DEP_1) | instskip(SKIP_2) | instid1(VALU_DEP_2)
	v_fma_f64 v[164:165], v[12:13], v[66:67], v[22:23]
	v_mul_f64_e32 v[12:13], v[12:13], v[68:69]
	v_add_f64_e64 v[22:23], v[82:83], -v[126:127]
	v_fma_f64 v[166:167], v[18:19], v[66:67], -v[12:13]
	s_delay_alu instid0(VALU_DEP_2)
	v_mul_f64_e32 v[44:45], s[14:15], v[22:23]
	v_mul_f64_e32 v[50:51], s[22:23], v[22:23]
	s_wait_alu 0xfffe
	v_mul_f64_e32 v[66:67], s[36:37], v[42:43]
	v_mul_f64_e32 v[203:204], s[36:37], v[22:23]
	s_wait_loadcnt 0x1
	v_mul_f64_e32 v[12:13], v[20:21], v[28:29]
	s_delay_alu instid0(VALU_DEP_1) | instskip(SKIP_2) | instid1(VALU_DEP_2)
	v_fma_f64 v[110:111], v[14:15], v[26:27], v[12:13]
	v_mul_f64_e32 v[12:13], v[14:15], v[28:29]
	v_add_f64_e64 v[28:29], v[108:109], -v[96:97]
	v_fma_f64 v[112:113], v[20:21], v[26:27], -v[12:13]
	ds_load_b64 v[12:13], v179 offset:13056
	v_add_f64_e32 v[20:21], v[78:79], v[16:17]
	v_mul_f64_e32 v[54:55], s[22:23], v[28:29]
	v_mul_f64_e32 v[58:59], s[28:29], v[28:29]
	s_wait_loadcnt_dscnt 0x0
	v_mul_f64_e32 v[14:15], v[12:13], v[36:37]
	s_delay_alu instid0(VALU_DEP_4) | instskip(SKIP_1) | instid1(VALU_DEP_3)
	v_fma_f64 v[26:27], v[20:21], s[26:27], v[50:51]
	v_fma_f64 v[205:206], v[20:21], s[38:39], v[203:204]
	;; [unrolled: 1-line block ×3, first 2 shown]
	v_mul_f64_e32 v[14:15], v[116:117], v[36:37]
	v_add_f64_e64 v[36:37], v[84:85], -v[124:125]
	s_delay_alu instid0(VALU_DEP_2)
	v_fma_f64 v[116:117], v[12:13], v[34:35], -v[14:15]
	ds_load_2addr_b64 v[12:15], v179 offset0:204 offset1:255
	v_mul_f64_e32 v[62:63], s[30:31], v[36:37]
	v_mul_f64_e32 v[64:65], s[34:35], v[36:37]
	s_wait_dscnt 0x0
	v_mul_f64_e32 v[18:19], v[14:15], v[172:173]
	s_delay_alu instid0(VALU_DEP_1) | instskip(SKIP_1) | instid1(VALU_DEP_1)
	v_fma_f64 v[118:119], v[10:11], v[170:171], v[18:19]
	v_mul_f64_e32 v[10:11], v[10:11], v[172:173]
	v_fma_f64 v[122:123], v[14:15], v[170:171], -v[10:11]
	v_mul_f64_e32 v[10:11], v[12:13], v[176:177]
	s_delay_alu instid0(VALU_DEP_1) | instskip(SKIP_1) | instid1(VALU_DEP_1)
	v_fma_f64 v[170:171], v[8:9], v[174:175], v[10:11]
	v_mul_f64_e32 v[8:9], v[8:9], v[176:177]
	v_fma_f64 v[172:173], v[12:13], v[174:175], -v[8:9]
	v_mul_f64_e32 v[12:13], v[2:3], v[176:177]
	ds_load_2addr_b64 v[8:11], v179 offset0:102 offset1:153
	s_wait_dscnt 0x0
	v_fma_f64 v[134:135], v[10:11], v[174:175], -v[12:13]
	v_mul_f64_e32 v[10:11], v[10:11], v[176:177]
	v_fma_f64 v[12:13], v[20:21], s[16:17], v[44:45]
	v_fma_f64 v[44:45], v[20:21], s[16:17], -v[44:45]
	s_delay_alu instid0(VALU_DEP_4) | instskip(NEXT) | instid1(VALU_DEP_4)
	v_add_f64_e64 v[18:19], v[134:135], -v[100:101]
	v_fma_f64 v[2:3], v[2:3], v[174:175], v[10:11]
	s_delay_alu instid0(VALU_DEP_2) | instskip(NEXT) | instid1(VALU_DEP_2)
	v_mul_f64_e32 v[34:35], s[6:7], v[18:19]
	v_add_f64_e32 v[14:15], v[2:3], v[194:195]
	v_mul_f64_e32 v[46:47], s[20:21], v[18:19]
	v_mul_f64_e32 v[162:163], s[14:15], v[18:19]
	s_delay_alu instid0(VALU_DEP_3) | instskip(SKIP_1) | instid1(VALU_DEP_2)
	v_fma_f64 v[10:11], v[14:15], s[12:13], v[34:35]
	v_fma_f64 v[34:35], v[14:15], s[12:13], -v[34:35]
	v_add_f64_e32 v[10:11], v[4:5], v[10:11]
	s_delay_alu instid0(VALU_DEP_2) | instskip(NEXT) | instid1(VALU_DEP_2)
	v_add_f64_e32 v[34:35], v[4:5], v[34:35]
	v_add_f64_e32 v[10:11], v[12:13], v[10:11]
	v_fma_f64 v[12:13], v[14:15], s[24:25], v[46:47]
	s_delay_alu instid0(VALU_DEP_3) | instskip(SKIP_2) | instid1(VALU_DEP_4)
	v_add_f64_e32 v[34:35], v[44:45], v[34:35]
	v_fma_f64 v[44:45], v[14:15], s[24:25], -v[46:47]
	v_fma_f64 v[46:47], v[20:21], s[26:27], -v[50:51]
	v_add_f64_e32 v[12:13], v[4:5], v[12:13]
	s_delay_alu instid0(VALU_DEP_3) | instskip(NEXT) | instid1(VALU_DEP_2)
	v_add_f64_e32 v[44:45], v[4:5], v[44:45]
	v_add_f64_e32 v[12:13], v[26:27], v[12:13]
	;; [unrolled: 1-line block ×3, first 2 shown]
	s_delay_alu instid0(VALU_DEP_3) | instskip(NEXT) | instid1(VALU_DEP_2)
	v_add_f64_e32 v[44:45], v[46:47], v[44:45]
	v_fma_f64 v[30:31], v[26:27], s[26:27], v[54:55]
	v_fma_f64 v[46:47], v[26:27], s[26:27], -v[54:55]
	v_add_f64_e64 v[54:55], v[130:131], -v[166:167]
	s_delay_alu instid0(VALU_DEP_3) | instskip(SKIP_1) | instid1(VALU_DEP_4)
	v_add_f64_e32 v[10:11], v[30:31], v[10:11]
	v_fma_f64 v[30:31], v[26:27], s[12:13], v[58:59]
	v_add_f64_e32 v[34:35], v[46:47], v[34:35]
	v_fma_f64 v[46:47], v[26:27], s[12:13], -v[58:59]
	v_add_f64_e32 v[58:59], v[128:129], v[164:165]
	v_mul_f64_e32 v[223:224], s[30:31], v[54:55]
	v_add_f64_e32 v[12:13], v[30:31], v[12:13]
	v_add_f64_e32 v[30:31], v[60:61], v[80:81]
	;; [unrolled: 1-line block ×3, first 2 shown]
	s_delay_alu instid0(VALU_DEP_4) | instskip(NEXT) | instid1(VALU_DEP_3)
	v_fma_f64 v[225:226], v[58:59], s[24:25], v[223:224]
	v_fma_f64 v[38:39], v[30:31], s[24:25], v[62:63]
	v_fma_f64 v[46:47], v[30:31], s[24:25], -v[62:63]
	v_mul_f64_e32 v[62:63], s[6:7], v[54:55]
	s_delay_alu instid0(VALU_DEP_3) | instskip(SKIP_1) | instid1(VALU_DEP_4)
	v_add_f64_e32 v[10:11], v[38:39], v[10:11]
	v_fma_f64 v[38:39], v[30:31], s[38:39], v[64:65]
	v_add_f64_e32 v[34:35], v[46:47], v[34:35]
	v_fma_f64 v[46:47], v[30:31], s[38:39], -v[64:65]
	v_fma_f64 v[64:65], v[58:59], s[12:13], v[62:63]
	s_delay_alu instid0(VALU_DEP_4) | instskip(SKIP_1) | instid1(VALU_DEP_4)
	v_add_f64_e32 v[12:13], v[38:39], v[12:13]
	v_add_f64_e32 v[38:39], v[180:181], v[56:57]
	v_add_f64_e32 v[44:45], v[46:47], v[44:45]
	s_delay_alu instid0(VALU_DEP_2) | instskip(SKIP_1) | instid1(VALU_DEP_2)
	v_fma_f64 v[68:69], v[38:39], s[38:39], v[66:67]
	v_fma_f64 v[46:47], v[38:39], s[38:39], -v[66:67]
	v_add_f64_e32 v[174:175], v[68:69], v[10:11]
	v_mul_f64_e32 v[68:69], s[14:15], v[42:43]
	s_delay_alu instid0(VALU_DEP_3) | instskip(NEXT) | instid1(VALU_DEP_2)
	v_add_f64_e32 v[34:35], v[46:47], v[34:35]
	v_fma_f64 v[10:11], v[38:39], s[16:17], v[68:69]
	v_fma_f64 v[46:47], v[38:39], s[16:17], -v[68:69]
	v_mul_f64_e32 v[68:69], s[14:15], v[54:55]
	s_delay_alu instid0(VALU_DEP_3)
	v_add_f64_e32 v[176:177], v[10:11], v[12:13]
	ds_load_2addr_b64 v[10:13], v179 offset1:51
	global_wb scope:SCOPE_SE
	s_wait_dscnt 0x0
	s_barrier_signal -1
	s_barrier_wait -1
	global_inv scope:SCOPE_SE
	v_add_f64_e32 v[44:45], v[46:47], v[44:45]
	ds_store_2addr_b64 v179, v[174:175], v[176:177] offset0:102 offset1:153
	v_fma_f64 v[174:175], v[14:15], s[16:17], v[162:163]
	v_mul_f64_e32 v[176:177], s[30:31], v[22:23]
	v_fma_f64 v[162:163], v[14:15], s[16:17], -v[162:163]
	v_mul_f64_e32 v[22:23], s[6:7], v[22:23]
	ds_store_2addr_b64 v187, v[44:45], v[34:35] offset0:152 offset1:203
	v_add_f64_e64 v[34:35], v[172:173], -v[148:149]
	v_add_f64_e32 v[44:45], v[170:171], v[146:147]
	v_add_f64_e32 v[174:175], v[4:5], v[174:175]
	v_fma_f64 v[199:200], v[20:21], s[24:25], v[176:177]
	v_add_f64_e32 v[162:163], v[4:5], v[162:163]
	v_mul_f64_e32 v[46:47], s[34:35], v[34:35]
	s_delay_alu instid0(VALU_DEP_3) | instskip(SKIP_2) | instid1(VALU_DEP_4)
	v_add_f64_e32 v[174:175], v[199:200], v[174:175]
	v_mul_f64_e32 v[199:200], s[18:19], v[18:19]
	v_mul_f64_e32 v[18:19], s[34:35], v[18:19]
	v_fma_f64 v[50:51], v[44:45], s[38:39], v[46:47]
	s_delay_alu instid0(VALU_DEP_3) | instskip(NEXT) | instid1(VALU_DEP_2)
	v_fma_f64 v[201:202], v[14:15], s[26:27], v[199:200]
	v_add_f64_e32 v[50:51], v[6:7], v[50:51]
	s_delay_alu instid0(VALU_DEP_2) | instskip(NEXT) | instid1(VALU_DEP_2)
	v_add_f64_e32 v[201:202], v[4:5], v[201:202]
	v_add_f64_e32 v[50:51], v[64:65], v[50:51]
	v_mul_f64_e32 v[64:65], s[6:7], v[34:35]
	s_delay_alu instid0(VALU_DEP_3) | instskip(SKIP_1) | instid1(VALU_DEP_3)
	v_add_f64_e32 v[201:202], v[205:206], v[201:202]
	v_mul_f64_e32 v[205:206], s[34:35], v[28:29]
	v_fma_f64 v[66:67], v[44:45], s[12:13], v[64:65]
	s_delay_alu instid0(VALU_DEP_2) | instskip(NEXT) | instid1(VALU_DEP_2)
	v_fma_f64 v[207:208], v[26:27], s[38:39], v[205:206]
	v_add_f64_e32 v[66:67], v[6:7], v[66:67]
	s_delay_alu instid0(VALU_DEP_2) | instskip(SKIP_2) | instid1(VALU_DEP_2)
	v_add_f64_e32 v[174:175], v[207:208], v[174:175]
	v_mul_f64_e32 v[207:208], s[14:15], v[28:29]
	v_mul_f64_e32 v[28:29], s[20:21], v[28:29]
	v_fma_f64 v[209:210], v[26:27], s[16:17], v[207:208]
	s_delay_alu instid0(VALU_DEP_1) | instskip(SKIP_1) | instid1(VALU_DEP_1)
	v_add_f64_e32 v[201:202], v[209:210], v[201:202]
	v_mul_f64_e32 v[209:210], s[18:19], v[36:37]
	v_fma_f64 v[211:212], v[30:31], s[26:27], v[209:210]
	s_delay_alu instid0(VALU_DEP_1) | instskip(SKIP_2) | instid1(VALU_DEP_2)
	v_add_f64_e32 v[174:175], v[211:212], v[174:175]
	v_mul_f64_e32 v[211:212], s[28:29], v[36:37]
	v_mul_f64_e32 v[36:37], s[14:15], v[36:37]
	v_fma_f64 v[213:214], v[30:31], s[12:13], v[211:212]
	s_delay_alu instid0(VALU_DEP_1) | instskip(SKIP_1) | instid1(VALU_DEP_1)
	v_add_f64_e32 v[201:202], v[213:214], v[201:202]
	v_mul_f64_e32 v[213:214], s[28:29], v[42:43]
	v_fma_f64 v[215:216], v[38:39], s[12:13], v[213:214]
	s_delay_alu instid0(VALU_DEP_1) | instskip(SKIP_2) | instid1(VALU_DEP_2)
	v_add_f64_e32 v[174:175], v[215:216], v[174:175]
	v_mul_f64_e32 v[215:216], s[20:21], v[42:43]
	v_mul_f64_e32 v[42:43], s[18:19], v[42:43]
	v_fma_f64 v[217:218], v[38:39], s[24:25], v[215:216]
	s_delay_alu instid0(VALU_DEP_1) | instskip(SKIP_4) | instid1(VALU_DEP_3)
	v_add_f64_e32 v[201:202], v[217:218], v[201:202]
	ds_store_2addr_b64 v179, v[174:175], v[201:202] offset0:204 offset1:255
	v_fma_f64 v[174:175], v[20:21], s[24:25], -v[176:177]
	v_fma_f64 v[176:177], v[20:21], s[38:39], -v[203:204]
	v_add_f64_e32 v[203:204], v[132:133], v[158:159]
	v_add_f64_e32 v[162:163], v[174:175], v[162:163]
	v_fma_f64 v[174:175], v[14:15], s[26:27], -v[199:200]
	s_delay_alu instid0(VALU_DEP_1) | instskip(NEXT) | instid1(VALU_DEP_1)
	v_add_f64_e32 v[174:175], v[4:5], v[174:175]
	v_add_f64_e32 v[174:175], v[176:177], v[174:175]
	v_fma_f64 v[176:177], v[26:27], s[38:39], -v[205:206]
	s_delay_alu instid0(VALU_DEP_1) | instskip(SKIP_1) | instid1(VALU_DEP_1)
	v_add_f64_e32 v[162:163], v[176:177], v[162:163]
	v_fma_f64 v[176:177], v[26:27], s[16:17], -v[207:208]
	v_add_f64_e32 v[174:175], v[176:177], v[174:175]
	v_fma_f64 v[176:177], v[30:31], s[26:27], -v[209:210]
	s_delay_alu instid0(VALU_DEP_1) | instskip(SKIP_2) | instid1(VALU_DEP_2)
	v_add_f64_e32 v[162:163], v[176:177], v[162:163]
	v_fma_f64 v[176:177], v[30:31], s[12:13], -v[211:212]
	v_add_f64_e32 v[211:212], v[154:155], v[138:139]
	v_add_f64_e32 v[174:175], v[176:177], v[174:175]
	v_fma_f64 v[176:177], v[38:39], s[12:13], -v[213:214]
	s_delay_alu instid0(VALU_DEP_1) | instskip(SKIP_1) | instid1(VALU_DEP_1)
	v_add_f64_e32 v[162:163], v[176:177], v[162:163]
	v_fma_f64 v[176:177], v[38:39], s[24:25], -v[215:216]
	v_add_f64_e32 v[174:175], v[176:177], v[174:175]
	ds_store_2addr_b64 v187, v[174:175], v[162:163] offset0:50 offset1:101
	v_fma_f64 v[162:163], v[58:59], s[16:17], v[68:69]
	v_add_f64_e32 v[174:175], v[150:151], v[142:143]
	v_dual_mov_b32 v187, v71 :: v_dual_mov_b32 v186, v70
	s_delay_alu instid0(VALU_DEP_3) | instskip(SKIP_1) | instid1(VALU_DEP_1)
	v_add_f64_e32 v[66:67], v[162:163], v[66:67]
	v_add_f64_e64 v[162:163], v[152:153], -v[144:145]
	v_mul_f64_e32 v[176:177], s[20:21], v[162:163]
	s_delay_alu instid0(VALU_DEP_1) | instskip(NEXT) | instid1(VALU_DEP_1)
	v_fma_f64 v[199:200], v[174:175], s[24:25], v[176:177]
	v_add_f64_e32 v[50:51], v[199:200], v[50:51]
	v_mul_f64_e32 v[199:200], s[22:23], v[162:163]
	s_delay_alu instid0(VALU_DEP_1) | instskip(NEXT) | instid1(VALU_DEP_1)
	v_fma_f64 v[201:202], v[174:175], s[26:27], v[199:200]
	v_add_f64_e32 v[66:67], v[201:202], v[66:67]
	v_add_f64_e64 v[201:202], v[136:137], -v[160:161]
	s_delay_alu instid0(VALU_DEP_1) | instskip(NEXT) | instid1(VALU_DEP_1)
	v_mul_f64_e32 v[205:206], s[14:15], v[201:202]
	v_fma_f64 v[207:208], v[203:204], s[16:17], v[205:206]
	s_delay_alu instid0(VALU_DEP_1) | instskip(SKIP_1) | instid1(VALU_DEP_1)
	v_add_f64_e32 v[50:51], v[207:208], v[50:51]
	v_mul_f64_e32 v[207:208], s[30:31], v[201:202]
	v_fma_f64 v[209:210], v[203:204], s[24:25], v[207:208]
	s_delay_alu instid0(VALU_DEP_1) | instskip(SKIP_1) | instid1(VALU_DEP_1)
	v_add_f64_e32 v[66:67], v[209:210], v[66:67]
	v_add_f64_e64 v[209:210], v[156:157], -v[140:141]
	v_mul_f64_e32 v[213:214], s[18:19], v[209:210]
	s_delay_alu instid0(VALU_DEP_1) | instskip(NEXT) | instid1(VALU_DEP_1)
	v_fma_f64 v[215:216], v[211:212], s[26:27], v[213:214]
	v_add_f64_e32 v[50:51], v[215:216], v[50:51]
	v_mul_f64_e32 v[215:216], s[36:37], v[209:210]
	s_delay_alu instid0(VALU_DEP_1) | instskip(NEXT) | instid1(VALU_DEP_1)
	v_fma_f64 v[217:218], v[211:212], s[38:39], v[215:216]
	v_add_f64_e32 v[66:67], v[217:218], v[66:67]
	v_mul_f64_e32 v[217:218], s[22:23], v[54:55]
	v_mul_f64_e32 v[54:55], s[36:37], v[54:55]
	ds_store_2addr_b64 v197, v[50:51], v[66:67] offset0:100 offset1:151
	v_mul_f64_e32 v[50:51], s[20:21], v[34:35]
	v_fma_f64 v[219:220], v[58:59], s[26:27], v[217:218]
	s_delay_alu instid0(VALU_DEP_2) | instskip(NEXT) | instid1(VALU_DEP_1)
	v_fma_f64 v[66:67], v[44:45], s[24:25], v[50:51]
	v_add_f64_e32 v[66:67], v[6:7], v[66:67]
	s_delay_alu instid0(VALU_DEP_1) | instskip(SKIP_2) | instid1(VALU_DEP_2)
	v_add_f64_e32 v[66:67], v[219:220], v[66:67]
	v_mul_f64_e32 v[219:220], s[14:15], v[34:35]
	v_mul_f64_e32 v[34:35], s[18:19], v[34:35]
	v_fma_f64 v[221:222], v[44:45], s[16:17], v[219:220]
	s_delay_alu instid0(VALU_DEP_1) | instskip(NEXT) | instid1(VALU_DEP_1)
	v_add_f64_e32 v[221:222], v[6:7], v[221:222]
	v_add_f64_e32 v[221:222], v[225:226], v[221:222]
	v_mul_f64_e32 v[225:226], s[28:29], v[162:163]
	s_delay_alu instid0(VALU_DEP_1) | instskip(NEXT) | instid1(VALU_DEP_1)
	v_fma_f64 v[227:228], v[174:175], s[12:13], v[225:226]
	v_add_f64_e32 v[66:67], v[227:228], v[66:67]
	v_mul_f64_e32 v[227:228], s[34:35], v[162:163]
	s_delay_alu instid0(VALU_DEP_1) | instskip(NEXT) | instid1(VALU_DEP_1)
	v_fma_f64 v[229:230], v[174:175], s[38:39], v[227:228]
	;; [unrolled: 4-line block ×6, first 2 shown]
	v_add_f64_e32 v[221:222], v[237:238], v[221:222]
	ds_store_2addr_b64 v197, v[66:67], v[221:222] offset0:202 offset1:253
	v_fma_f64 v[66:67], v[44:45], s[26:27], v[34:35]
	v_fma_f64 v[34:35], v[44:45], s[26:27], -v[34:35]
	v_fma_f64 v[221:222], v[58:59], s[38:39], v[54:55]
	v_fma_f64 v[54:55], v[58:59], s[38:39], -v[54:55]
	s_delay_alu instid0(VALU_DEP_4) | instskip(NEXT) | instid1(VALU_DEP_4)
	v_add_f64_e32 v[66:67], v[6:7], v[66:67]
	v_add_f64_e32 v[34:35], v[6:7], v[34:35]
	s_delay_alu instid0(VALU_DEP_2) | instskip(NEXT) | instid1(VALU_DEP_2)
	v_add_f64_e32 v[66:67], v[221:222], v[66:67]
	v_add_f64_e32 v[34:35], v[54:55], v[34:35]
	v_mul_f64_e32 v[54:55], s[14:15], v[162:163]
	s_delay_alu instid0(VALU_DEP_1) | instskip(SKIP_1) | instid1(VALU_DEP_2)
	v_fma_f64 v[162:163], v[174:175], s[16:17], v[54:55]
	v_fma_f64 v[54:55], v[174:175], s[16:17], -v[54:55]
	v_add_f64_e32 v[66:67], v[162:163], v[66:67]
	s_delay_alu instid0(VALU_DEP_2) | instskip(SKIP_1) | instid1(VALU_DEP_1)
	v_add_f64_e32 v[34:35], v[54:55], v[34:35]
	v_mul_f64_e32 v[54:55], s[28:29], v[201:202]
	v_fma_f64 v[162:163], v[203:204], s[12:13], v[54:55]
	v_fma_f64 v[54:55], v[203:204], s[12:13], -v[54:55]
	s_delay_alu instid0(VALU_DEP_2) | instskip(NEXT) | instid1(VALU_DEP_2)
	v_add_f64_e32 v[66:67], v[162:163], v[66:67]
	v_add_f64_e32 v[34:35], v[54:55], v[34:35]
	v_mul_f64_e32 v[54:55], s[20:21], v[209:210]
	s_delay_alu instid0(VALU_DEP_1) | instskip(SKIP_1) | instid1(VALU_DEP_2)
	v_fma_f64 v[162:163], v[211:212], s[24:25], v[54:55]
	v_fma_f64 v[54:55], v[211:212], s[24:25], -v[54:55]
	v_add_f64_e32 v[66:67], v[162:163], v[66:67]
	s_delay_alu instid0(VALU_DEP_2)
	v_add_f64_e32 v[34:35], v[54:55], v[34:35]
	v_fma_f64 v[54:55], v[58:59], s[24:25], -v[223:224]
	ds_store_2addr_b64 v185, v[66:67], v[34:35] offset0:48 offset1:99
	v_fma_f64 v[34:35], v[44:45], s[24:25], -v[50:51]
	v_fma_f64 v[50:51], v[58:59], s[26:27], -v[217:218]
	v_add_f64_e32 v[66:67], v[86:87], v[88:89]
	s_delay_alu instid0(VALU_DEP_3) | instskip(NEXT) | instid1(VALU_DEP_1)
	v_add_f64_e32 v[34:35], v[6:7], v[34:35]
	v_add_f64_e32 v[34:35], v[50:51], v[34:35]
	v_fma_f64 v[50:51], v[44:45], s[16:17], -v[219:220]
	v_add_f64_e32 v[218:219], v[108:109], v[96:97]
	s_delay_alu instid0(VALU_DEP_2) | instskip(NEXT) | instid1(VALU_DEP_2)
	v_add_f64_e32 v[50:51], v[6:7], v[50:51]
	v_mul_f64_e32 v[220:221], s[38:39], v[218:219]
	v_mul_f64_e32 v[222:223], s[16:17], v[218:219]
	s_delay_alu instid0(VALU_DEP_3) | instskip(SKIP_2) | instid1(VALU_DEP_2)
	v_add_f64_e32 v[50:51], v[54:55], v[50:51]
	v_fma_f64 v[54:55], v[174:175], s[12:13], -v[225:226]
	v_add_f64_e32 v[224:225], v[84:85], v[124:125]
	v_add_f64_e32 v[34:35], v[54:55], v[34:35]
	v_fma_f64 v[54:55], v[174:175], s[38:39], -v[227:228]
	s_delay_alu instid0(VALU_DEP_3) | instskip(NEXT) | instid1(VALU_DEP_2)
	v_mul_f64_e32 v[226:227], s[26:27], v[224:225]
	v_add_f64_e32 v[50:51], v[54:55], v[50:51]
	v_fma_f64 v[54:55], v[203:204], s[38:39], -v[229:230]
	v_mul_f64_e32 v[228:229], s[12:13], v[224:225]
	s_delay_alu instid0(VALU_DEP_2) | instskip(SKIP_2) | instid1(VALU_DEP_2)
	v_add_f64_e32 v[34:35], v[54:55], v[34:35]
	v_fma_f64 v[54:55], v[203:204], s[26:27], -v[231:232]
	v_add_f64_e32 v[230:231], v[120:121], v[92:93]
	v_add_f64_e32 v[50:51], v[54:55], v[50:51]
	v_fma_f64 v[54:55], v[211:212], s[16:17], -v[233:234]
	s_delay_alu instid0(VALU_DEP_3) | instskip(NEXT) | instid1(VALU_DEP_2)
	v_mul_f64_e32 v[232:233], s[12:13], v[230:231]
	v_add_f64_e32 v[34:35], v[54:55], v[34:35]
	v_fma_f64 v[54:55], v[211:212], s[12:13], -v[235:236]
	v_mul_f64_e32 v[236:237], s[24:25], v[230:231]
	s_delay_alu instid0(VALU_DEP_2)
	v_add_f64_e32 v[50:51], v[54:55], v[50:51]
	v_fma_f64 v[54:55], v[174:175], s[24:25], -v[176:177]
	ds_store_2addr_b64 v185, v[50:51], v[34:35] offset0:150 offset1:201
	v_fma_f64 v[34:35], v[44:45], s[38:39], -v[46:47]
	v_fma_f64 v[44:45], v[44:45], s[12:13], -v[64:65]
	;; [unrolled: 1-line block ×5, first 2 shown]
	v_lshl_add_u32 v174, v198, 3, 0
	s_delay_alu instid0(VALU_DEP_1) | instskip(SKIP_3) | instid1(VALU_DEP_3)
	v_add_nc_u32_e32 v175, 0x2000, v174
	v_add_f64_e32 v[34:35], v[6:7], v[34:35]
	v_add_f64_e32 v[44:45], v[6:7], v[44:45]
	;; [unrolled: 1-line block ×4, first 2 shown]
	s_delay_alu instid0(VALU_DEP_3)
	v_add_f64_e32 v[44:45], v[50:51], v[44:45]
	v_fma_f64 v[46:47], v[203:204], s[16:17], -v[205:206]
	v_fma_f64 v[50:51], v[203:204], s[24:25], -v[207:208]
	v_add_f64_e32 v[6:7], v[6:7], v[128:129]
	v_add_f64_e64 v[128:129], v[128:129], -v[164:165]
	v_add_f64_e32 v[34:35], v[54:55], v[34:35]
	v_add_f64_e32 v[44:45], v[58:59], v[44:45]
	v_fma_f64 v[54:55], v[211:212], s[26:27], -v[213:214]
	v_fma_f64 v[58:59], v[211:212], s[38:39], -v[215:216]
	v_add_f64_e32 v[6:7], v[6:7], v[150:151]
	v_add_f64_e32 v[34:35], v[46:47], v[34:35]
	;; [unrolled: 1-line block ×4, first 2 shown]
	s_delay_alu instid0(VALU_DEP_4)
	v_add_f64_e32 v[6:7], v[6:7], v[132:133]
	v_add_f64_e64 v[132:133], v[132:133], -v[158:159]
	v_add_f64_e32 v[34:35], v[54:55], v[34:35]
	v_add_f64_e32 v[44:45], v[58:59], v[44:45]
	;; [unrolled: 1-line block ×4, first 2 shown]
	ds_store_2addr_b64 v184, v[44:45], v[34:35] offset0:124 offset1:175
	v_fma_f64 v[34:35], v[14:15], s[38:39], v[18:19]
	v_fma_f64 v[44:45], v[20:21], s[12:13], v[22:23]
	v_fma_f64 v[14:15], v[14:15], s[38:39], -v[18:19]
	v_fma_f64 v[18:19], v[20:21], s[12:13], -v[22:23]
	v_add_f64_e32 v[6:7], v[6:7], v[138:139]
	v_fma_f64 v[20:21], v[26:27], s[24:25], -v[28:29]
	v_add_f64_e32 v[22:23], v[118:119], v[114:115]
	v_add_f64_e64 v[138:139], v[154:155], -v[138:139]
	v_add_f64_e32 v[34:35], v[4:5], v[34:35]
	v_add_f64_e32 v[6:7], v[6:7], v[158:159]
	s_delay_alu instid0(VALU_DEP_2) | instskip(SKIP_1) | instid1(VALU_DEP_3)
	v_add_f64_e32 v[34:35], v[44:45], v[34:35]
	v_fma_f64 v[44:45], v[26:27], s[24:25], v[28:29]
	v_add_f64_e32 v[6:7], v[6:7], v[142:143]
	v_add_f64_e64 v[142:143], v[150:151], -v[142:143]
	s_delay_alu instid0(VALU_DEP_3) | instskip(SKIP_1) | instid1(VALU_DEP_4)
	v_add_f64_e32 v[34:35], v[44:45], v[34:35]
	v_fma_f64 v[44:45], v[30:31], s[16:17], v[36:37]
	v_add_f64_e32 v[6:7], v[6:7], v[164:165]
	s_delay_alu instid0(VALU_DEP_2) | instskip(SKIP_1) | instid1(VALU_DEP_3)
	v_add_f64_e32 v[34:35], v[44:45], v[34:35]
	v_fma_f64 v[44:45], v[38:39], s[26:27], v[42:43]
	v_add_f64_e32 v[6:7], v[6:7], v[146:147]
	v_add_f64_e64 v[146:147], v[170:171], -v[146:147]
	s_delay_alu instid0(VALU_DEP_3) | instskip(SKIP_3) | instid1(VALU_DEP_3)
	v_add_f64_e32 v[34:35], v[44:45], v[34:35]
	v_add_f64_e32 v[44:45], v[4:5], v[2:3]
	;; [unrolled: 1-line block ×3, first 2 shown]
	v_fma_f64 v[14:15], v[30:31], s[16:17], -v[36:37]
	v_add_f64_e32 v[44:45], v[44:45], v[78:79]
	s_delay_alu instid0(VALU_DEP_3) | instskip(SKIP_2) | instid1(VALU_DEP_4)
	v_add_f64_e32 v[4:5], v[18:19], v[4:5]
	v_fma_f64 v[18:19], v[38:39], s[26:27], -v[42:43]
	v_add_f64_e32 v[38:39], v[70:71], v[110:111]
	v_add_f64_e32 v[44:45], v[44:45], v[182:183]
	s_delay_alu instid0(VALU_DEP_4) | instskip(NEXT) | instid1(VALU_DEP_2)
	v_add_f64_e32 v[4:5], v[20:21], v[4:5]
	v_add_f64_e32 v[44:45], v[44:45], v[60:61]
	s_delay_alu instid0(VALU_DEP_2) | instskip(NEXT) | instid1(VALU_DEP_2)
	v_add_f64_e32 v[4:5], v[14:15], v[4:5]
	v_add_f64_e32 v[44:45], v[44:45], v[180:181]
	s_delay_alu instid0(VALU_DEP_2) | instskip(NEXT) | instid1(VALU_DEP_2)
	v_add_f64_e32 v[4:5], v[18:19], v[4:5]
	v_add_f64_e32 v[44:45], v[44:45], v[56:57]
	ds_store_2addr_b64 v189, v[4:5], v[6:7] offset0:126 offset1:177
	v_add_f64_e64 v[4:5], v[122:123], -v[116:117]
	v_add_f64_e32 v[44:45], v[44:45], v[80:81]
	s_delay_alu instid0(VALU_DEP_2)
	v_mul_f64_e32 v[6:7], s[34:35], v[4:5]
	v_mul_f64_e32 v[14:15], s[6:7], v[4:5]
	;; [unrolled: 1-line block ×5, first 2 shown]
	v_add_f64_e32 v[44:45], v[44:45], v[52:53]
	v_fma_f64 v[26:27], v[22:23], s[38:39], v[6:7]
	v_fma_f64 v[28:29], v[22:23], s[12:13], v[14:15]
	;; [unrolled: 1-line block ×3, first 2 shown]
	v_fma_f64 v[6:7], v[22:23], s[38:39], -v[6:7]
	v_fma_f64 v[36:37], v[22:23], s[26:27], v[4:5]
	v_fma_f64 v[14:15], v[22:23], s[12:13], -v[14:15]
	v_fma_f64 v[18:19], v[22:23], s[24:25], -v[18:19]
	;; [unrolled: 1-line block ×3, first 2 shown]
	v_add_f64_e32 v[44:45], v[44:45], v[16:17]
	v_add_f64_e32 v[6:7], v[0:1], v[6:7]
	;; [unrolled: 1-line block ×6, first 2 shown]
	ds_store_2addr_b64 v179, v[44:45], v[34:35] offset1:51
	v_fma_f64 v[34:35], v[22:23], s[16:17], v[20:21]
	v_fma_f64 v[20:21], v[22:23], s[16:17], -v[20:21]
	v_add_f64_e32 v[22:23], v[0:1], v[26:27]
	v_add_f64_e32 v[26:27], v[0:1], v[28:29]
	;; [unrolled: 1-line block ×5, first 2 shown]
	v_add_f64_e64 v[36:37], v[32:33], -v[112:113]
	v_add_f64_e32 v[20:21], v[0:1], v[20:21]
	v_add_f64_e32 v[0:1], v[0:1], v[118:119]
	s_delay_alu instid0(VALU_DEP_3) | instskip(NEXT) | instid1(VALU_DEP_2)
	v_mul_f64_e32 v[42:43], s[6:7], v[36:37]
	v_add_f64_e32 v[0:1], v[0:1], v[70:71]
	s_delay_alu instid0(VALU_DEP_2) | instskip(NEXT) | instid1(VALU_DEP_2)
	v_fma_f64 v[44:45], v[38:39], s[12:13], v[42:43]
	v_add_f64_e32 v[0:1], v[0:1], v[168:169]
	s_delay_alu instid0(VALU_DEP_2) | instskip(SKIP_1) | instid1(VALU_DEP_3)
	v_add_f64_e32 v[22:23], v[44:45], v[22:23]
	v_add_f64_e64 v[44:45], v[40:41], -v[106:107]
	v_add_f64_e32 v[0:1], v[0:1], v[24:25]
	s_delay_alu instid0(VALU_DEP_2) | instskip(NEXT) | instid1(VALU_DEP_2)
	v_mul_f64_e32 v[50:51], s[20:21], v[44:45]
	v_add_f64_e32 v[0:1], v[0:1], v[86:87]
	v_mul_f64_e32 v[198:199], s[28:29], v[44:45]
	v_add_f64_e64 v[86:87], v[86:87], -v[88:89]
	s_delay_alu instid0(VALU_DEP_4) | instskip(NEXT) | instid1(VALU_DEP_4)
	v_fma_f64 v[54:55], v[46:47], s[24:25], v[50:51]
	v_add_f64_e32 v[0:1], v[0:1], v[88:89]
	s_delay_alu instid0(VALU_DEP_2) | instskip(SKIP_1) | instid1(VALU_DEP_3)
	v_add_f64_e32 v[22:23], v[54:55], v[22:23]
	v_add_f64_e64 v[54:55], v[48:49], -v[102:103]
	v_add_f64_e32 v[0:1], v[0:1], v[98:99]
	v_add_f64_e64 v[98:99], v[24:25], -v[98:99]
	s_delay_alu instid0(VALU_DEP_3) | instskip(NEXT) | instid1(VALU_DEP_3)
	v_mul_f64_e32 v[62:63], s[14:15], v[54:55]
	v_add_f64_e32 v[0:1], v[0:1], v[104:105]
	v_mul_f64_e32 v[200:201], s[30:31], v[54:55]
	v_mul_f64_e32 v[202:203], s[34:35], v[54:55]
	;; [unrolled: 1-line block ×4, first 2 shown]
	v_fma_f64 v[64:65], v[58:59], s[16:17], v[62:63]
	v_add_f64_e32 v[0:1], v[0:1], v[110:111]
	s_delay_alu instid0(VALU_DEP_2) | instskip(SKIP_1) | instid1(VALU_DEP_3)
	v_add_f64_e32 v[22:23], v[64:65], v[22:23]
	v_add_f64_e64 v[64:65], v[90:91], -v[94:95]
	v_add_f64_e32 v[0:1], v[0:1], v[114:115]
	s_delay_alu instid0(VALU_DEP_2)
	v_mul_f64_e32 v[68:69], s[18:19], v[64:65]
	v_mul_f64_e32 v[204:205], s[36:37], v[64:65]
	;; [unrolled: 1-line block ×5, first 2 shown]
	v_fma_f64 v[162:163], v[66:67], s[26:27], v[68:69]
	s_delay_alu instid0(VALU_DEP_1) | instskip(SKIP_2) | instid1(VALU_DEP_1)
	v_add_f64_e32 v[22:23], v[162:163], v[22:23]
	ds_store_2addr_b64 v175, v[0:1], v[22:23] offset0:98 offset1:149
	v_mul_f64_e32 v[0:1], s[14:15], v[36:37]
	v_fma_f64 v[22:23], v[38:39], s[16:17], v[0:1]
	v_fma_f64 v[0:1], v[38:39], s[16:17], -v[0:1]
	s_delay_alu instid0(VALU_DEP_2) | instskip(SKIP_1) | instid1(VALU_DEP_3)
	v_add_f64_e32 v[22:23], v[22:23], v[26:27]
	v_mul_f64_e32 v[26:27], s[22:23], v[36:37]
	v_add_f64_e32 v[0:1], v[0:1], v[14:15]
	s_delay_alu instid0(VALU_DEP_2) | instskip(NEXT) | instid1(VALU_DEP_1)
	v_fma_f64 v[162:163], v[38:39], s[26:27], v[26:27]
	v_add_f64_e32 v[28:29], v[162:163], v[28:29]
	v_mul_f64_e32 v[162:163], s[22:23], v[44:45]
	s_delay_alu instid0(VALU_DEP_1) | instskip(SKIP_3) | instid1(VALU_DEP_4)
	v_fma_f64 v[176:177], v[46:47], s[26:27], v[162:163]
	v_fma_f64 v[14:15], v[46:47], s[26:27], -v[162:163]
	v_add_f64_e64 v[162:163], v[2:3], -v[194:195]
	v_fma_f64 v[2:3], v[46:47], s[24:25], -v[50:51]
	v_add_f64_e32 v[22:23], v[176:177], v[22:23]
	v_fma_f64 v[176:177], v[46:47], s[12:13], v[198:199]
	v_add_f64_e32 v[0:1], v[14:15], v[0:1]
	v_fma_f64 v[14:15], v[46:47], s[12:13], -v[198:199]
	v_add_f64_e64 v[198:199], v[78:79], -v[16:17]
	s_delay_alu instid0(VALU_DEP_4) | instskip(SKIP_1) | instid1(VALU_DEP_1)
	v_add_f64_e32 v[28:29], v[176:177], v[28:29]
	v_fma_f64 v[176:177], v[58:59], s[24:25], v[200:201]
	v_add_f64_e32 v[22:23], v[176:177], v[22:23]
	v_fma_f64 v[176:177], v[58:59], s[38:39], v[202:203]
	s_delay_alu instid0(VALU_DEP_1) | instskip(SKIP_1) | instid1(VALU_DEP_1)
	v_add_f64_e32 v[28:29], v[176:177], v[28:29]
	v_fma_f64 v[176:177], v[66:67], s[38:39], v[204:205]
	v_add_f64_e32 v[22:23], v[176:177], v[22:23]
	v_fma_f64 v[176:177], v[66:67], s[16:17], v[206:207]
	s_delay_alu instid0(VALU_DEP_1) | instskip(SKIP_2) | instid1(VALU_DEP_1)
	v_add_f64_e32 v[28:29], v[176:177], v[28:29]
	ds_store_2addr_b64 v175, v[22:23], v[28:29] offset0:200 offset1:251
	v_mul_f64_e32 v[22:23], s[30:31], v[36:37]
	v_fma_f64 v[28:29], v[38:39], s[24:25], v[22:23]
	v_fma_f64 v[22:23], v[38:39], s[24:25], -v[22:23]
	s_delay_alu instid0(VALU_DEP_2) | instskip(SKIP_1) | instid1(VALU_DEP_3)
	v_add_f64_e32 v[28:29], v[28:29], v[30:31]
	v_mul_f64_e32 v[30:31], s[36:37], v[36:37]
	v_add_f64_e32 v[20:21], v[22:23], v[20:21]
	s_delay_alu instid0(VALU_DEP_2) | instskip(SKIP_1) | instid1(VALU_DEP_2)
	v_fma_f64 v[36:37], v[38:39], s[38:39], v[30:31]
	v_fma_f64 v[22:23], v[38:39], s[38:39], -v[30:31]
	v_add_f64_e32 v[34:35], v[36:37], v[34:35]
	v_mul_f64_e32 v[36:37], s[34:35], v[44:45]
	v_mul_f64_e32 v[44:45], s[14:15], v[44:45]
	s_delay_alu instid0(VALU_DEP_4) | instskip(NEXT) | instid1(VALU_DEP_3)
	v_add_f64_e32 v[4:5], v[22:23], v[4:5]
	v_fma_f64 v[22:23], v[46:47], s[38:39], -v[36:37]
	v_fma_f64 v[176:177], v[46:47], s[38:39], v[36:37]
	s_delay_alu instid0(VALU_DEP_2) | instskip(SKIP_1) | instid1(VALU_DEP_3)
	v_add_f64_e32 v[20:21], v[22:23], v[20:21]
	v_fma_f64 v[22:23], v[46:47], s[16:17], -v[44:45]
	v_add_f64_e32 v[28:29], v[176:177], v[28:29]
	v_fma_f64 v[176:177], v[46:47], s[16:17], v[44:45]
	s_delay_alu instid0(VALU_DEP_3) | instskip(SKIP_1) | instid1(VALU_DEP_3)
	v_add_f64_e32 v[4:5], v[22:23], v[4:5]
	v_fma_f64 v[22:23], v[58:59], s[26:27], -v[208:209]
	v_add_f64_e32 v[34:35], v[176:177], v[34:35]
	v_fma_f64 v[176:177], v[58:59], s[26:27], v[208:209]
	s_delay_alu instid0(VALU_DEP_3) | instskip(SKIP_1) | instid1(VALU_DEP_3)
	;; [unrolled: 5-line block ×5, first 2 shown]
	v_add_f64_e32 v[4:5], v[22:23], v[4:5]
	v_mov_b32_e32 v22, v82
	v_add_f64_e32 v[34:35], v[176:177], v[34:35]
	v_dual_mov_b32 v23, v83 :: v_dual_add_nc_u32 v176, 0x2800, v174
	v_add_nc_u32_e32 v177, 0x2c00, v174
	s_delay_alu instid0(VALU_DEP_2)
	v_add_f64_e32 v[210:211], v[22:23], v[126:127]
	ds_store_2addr_b64 v176, v[4:5], v[20:21] offset0:148 offset1:199
	v_fma_f64 v[4:5], v[38:39], s[26:27], -v[26:27]
	ds_store_2addr_b64 v176, v[28:29], v[34:35] offset0:46 offset1:97
	v_mul_f64_e32 v[212:213], s[24:25], v[210:211]
	v_mul_f64_e32 v[216:217], s[38:39], v[210:211]
	;; [unrolled: 1-line block ×3, first 2 shown]
	v_add_f64_e32 v[4:5], v[4:5], v[18:19]
	s_delay_alu instid0(VALU_DEP_4) | instskip(NEXT) | instid1(VALU_DEP_4)
	v_fma_f64 v[18:19], v[198:199], s[30:31], v[212:213]
	v_fma_f64 v[20:21], v[198:199], s[36:37], v[216:217]
	s_delay_alu instid0(VALU_DEP_4) | instskip(NEXT) | instid1(VALU_DEP_4)
	v_fma_f64 v[246:247], v[198:199], s[22:23], v[244:245]
	v_add_f64_e32 v[4:5], v[14:15], v[4:5]
	v_fma_f64 v[14:15], v[58:59], s[24:25], -v[200:201]
	v_add_f64_e64 v[200:201], v[182:183], -v[52:53]
	s_delay_alu instid0(VALU_DEP_2) | instskip(SKIP_2) | instid1(VALU_DEP_2)
	v_add_f64_e32 v[0:1], v[14:15], v[0:1]
	v_fma_f64 v[14:15], v[58:59], s[38:39], -v[202:203]
	v_add_f64_e64 v[202:203], v[60:61], -v[80:81]
	v_add_f64_e32 v[4:5], v[14:15], v[4:5]
	v_fma_f64 v[14:15], v[66:67], s[38:39], -v[204:205]
	v_add_f64_e64 v[204:205], v[180:181], -v[56:57]
	s_delay_alu instid0(VALU_DEP_2) | instskip(SKIP_2) | instid1(VALU_DEP_2)
	v_add_f64_e32 v[0:1], v[14:15], v[0:1]
	v_fma_f64 v[14:15], v[66:67], s[16:17], -v[206:207]
	v_add_f64_e32 v[206:207], v[134:135], v[100:101]
	v_add_f64_e32 v[4:5], v[14:15], v[4:5]
	s_delay_alu instid0(VALU_DEP_2)
	v_mul_f64_e32 v[208:209], s[16:17], v[206:207]
	v_mul_f64_e32 v[214:215], s[26:27], v[206:207]
	v_fma_f64 v[14:15], v[66:67], s[26:27], -v[68:69]
	ds_store_2addr_b64 v177, v[4:5], v[0:1] offset0:122 offset1:173
	v_fma_f64 v[16:17], v[162:163], s[14:15], v[208:209]
	v_fma_f64 v[0:1], v[38:39], s[12:13], -v[42:43]
	v_fma_f64 v[4:5], v[58:59], s[16:17], -v[62:63]
	s_delay_alu instid0(VALU_DEP_3) | instskip(NEXT) | instid1(VALU_DEP_3)
	v_add_f64_e32 v[16:17], v[10:11], v[16:17]
	v_add_f64_e32 v[0:1], v[0:1], v[6:7]
	v_fma_f64 v[6:7], v[200:201], s[34:35], v[220:221]
	s_delay_alu instid0(VALU_DEP_3) | instskip(SKIP_1) | instid1(VALU_DEP_4)
	v_add_f64_e32 v[16:17], v[18:19], v[16:17]
	v_fma_f64 v[18:19], v[162:163], s[18:19], v[214:215]
	v_add_f64_e32 v[0:1], v[2:3], v[0:1]
	v_fma_f64 v[2:3], v[202:203], s[18:19], v[226:227]
	s_delay_alu instid0(VALU_DEP_4) | instskip(NEXT) | instid1(VALU_DEP_4)
	v_add_f64_e32 v[6:7], v[6:7], v[16:17]
	v_add_f64_e32 v[18:19], v[10:11], v[18:19]
	v_fma_f64 v[16:17], v[200:201], s[14:15], v[222:223]
	v_add_f64_e32 v[0:1], v[4:5], v[0:1]
	v_fma_f64 v[4:5], v[204:205], s[28:29], v[232:233]
	v_add_f64_e32 v[2:3], v[2:3], v[6:7]
	v_add_f64_e32 v[18:19], v[20:21], v[18:19]
	v_fma_f64 v[6:7], v[202:203], s[28:29], v[228:229]
	v_add_f64_e32 v[0:1], v[14:15], v[0:1]
	s_delay_alu instid0(VALU_DEP_4) | instskip(NEXT) | instid1(VALU_DEP_4)
	v_add_f64_e32 v[234:235], v[4:5], v[2:3]
	v_add_f64_e32 v[16:17], v[16:17], v[18:19]
	v_fma_f64 v[2:3], v[204:205], s[20:21], v[236:237]
	ds_store_b64 v174, v[0:1] offset:13056
	global_wb scope:SCOPE_SE
	s_wait_dscnt 0x0
	s_barrier_signal -1
	s_barrier_wait -1
	global_inv scope:SCOPE_SE
	v_add_f64_e32 v[6:7], v[6:7], v[16:17]
	s_delay_alu instid0(VALU_DEP_1)
	v_add_f64_e32 v[238:239], v[2:3], v[6:7]
	ds_load_b64 v[30:31], v179 offset:13056
	ds_load_2addr_b64 v[0:3], v190 offset0:98 offset1:149
	ds_load_2addr_b64 v[18:21], v190 offset0:200 offset1:251
	;; [unrolled: 1-line block ×5, first 2 shown]
	ds_load_2addr_b64 v[14:17], v179 offset1:51
	v_mul_f64_e32 v[191:192], s[12:13], v[206:207]
	s_wait_dscnt 0x0
	scratch_store_b128 off, v[14:17], off offset:48 ; 16-byte Folded Spill
	ds_load_2addr_b64 v[26:29], v189 offset0:126 offset1:177
	ds_load_2addr_b64 v[34:37], v197 offset0:100 offset1:151
	;; [unrolled: 1-line block ×3, first 2 shown]
	s_wait_dscnt 0x0
	scratch_store_b128 off, v[14:17], off offset:32 ; 16-byte Folded Spill
	ds_load_2addr_b64 v[42:45], v197 offset0:202 offset1:253
	ds_load_2addr_b64 v[14:17], v179 offset0:204 offset1:255
	s_wait_dscnt 0x0
	scratch_store_b128 off, v[14:17], off   ; 16-byte Folded Spill
	ds_load_2addr_b64 v[50:53], v185 offset0:48 offset1:99
	ds_load_2addr_b64 v[14:17], v72 offset0:50 offset1:101
	s_wait_dscnt 0x0
	scratch_store_b128 off, v[14:17], off offset:16 ; 16-byte Folded Spill
	ds_load_2addr_b64 v[58:61], v185 offset0:150 offset1:201
	ds_load_2addr_b64 v[14:17], v72 offset0:152 offset1:203
	;; [unrolled: 1-line block ×3, first 2 shown]
	s_wait_dscnt 0x1
	scratch_store_b128 off, v[14:17], off offset:64 ; 16-byte Folded Spill
	global_wb scope:SCOPE_SE
	s_wait_storecnt_dscnt 0x0
	s_barrier_signal -1
	s_barrier_wait -1
	global_inv scope:SCOPE_SE
	ds_store_2addr_b64 v72, v[238:239], v[234:235] offset0:50 offset1:101
	v_fma_f64 v[234:235], v[162:163], s[6:7], v[191:192]
	v_mul_f64_e32 v[238:239], s[16:17], v[210:211]
	s_delay_alu instid0(VALU_DEP_2) | instskip(NEXT) | instid1(VALU_DEP_2)
	v_add_f64_e32 v[234:235], v[10:11], v[234:235]
	v_fma_f64 v[240:241], v[198:199], s[14:15], v[238:239]
	s_delay_alu instid0(VALU_DEP_1) | instskip(SKIP_1) | instid1(VALU_DEP_1)
	v_add_f64_e32 v[234:235], v[240:241], v[234:235]
	v_mul_f64_e32 v[240:241], s[24:25], v[206:207]
	v_fma_f64 v[242:243], v[162:163], s[20:21], v[240:241]
	s_delay_alu instid0(VALU_DEP_1) | instskip(NEXT) | instid1(VALU_DEP_1)
	v_add_f64_e32 v[242:243], v[10:11], v[242:243]
	v_add_f64_e32 v[242:243], v[246:247], v[242:243]
	v_mul_f64_e32 v[246:247], s[26:27], v[218:219]
	s_delay_alu instid0(VALU_DEP_1) | instskip(NEXT) | instid1(VALU_DEP_1)
	v_fma_f64 v[248:249], v[200:201], s[22:23], v[246:247]
	v_add_f64_e32 v[234:235], v[248:249], v[234:235]
	v_mul_f64_e32 v[248:249], s[12:13], v[218:219]
	s_delay_alu instid0(VALU_DEP_1) | instskip(NEXT) | instid1(VALU_DEP_1)
	v_fma_f64 v[250:251], v[200:201], s[28:29], v[248:249]
	;; [unrolled: 4-line block ×6, first 2 shown]
	v_add_f64_e32 v[180:181], v[180:181], v[242:243]
	ds_store_2addr_b64 v72, v[180:181], v[195:196] offset0:152 offset1:203
	v_mul_f64_e32 v[180:181], s[38:39], v[206:207]
	v_mul_f64_e32 v[195:196], s[12:13], v[210:211]
	s_delay_alu instid0(VALU_DEP_2) | instskip(NEXT) | instid1(VALU_DEP_2)
	v_fma_f64 v[206:207], v[162:163], s[34:35], v[180:181]
	v_fma_f64 v[210:211], v[198:199], s[6:7], v[195:196]
	s_delay_alu instid0(VALU_DEP_2) | instskip(NEXT) | instid1(VALU_DEP_1)
	v_add_f64_e32 v[206:207], v[10:11], v[206:207]
	v_add_f64_e32 v[206:207], v[210:211], v[206:207]
	v_mul_f64_e32 v[210:211], s[24:25], v[218:219]
	s_delay_alu instid0(VALU_DEP_1) | instskip(NEXT) | instid1(VALU_DEP_1)
	v_fma_f64 v[218:219], v[200:201], s[20:21], v[210:211]
	v_add_f64_e32 v[206:207], v[218:219], v[206:207]
	v_mul_f64_e32 v[218:219], s[16:17], v[224:225]
	s_delay_alu instid0(VALU_DEP_1) | instskip(NEXT) | instid1(VALU_DEP_1)
	v_fma_f64 v[224:225], v[202:203], s[14:15], v[218:219]
	;; [unrolled: 4-line block ×3, first 2 shown]
	v_add_f64_e32 v[206:207], v[230:231], v[206:207]
	v_add_f64_e32 v[230:231], v[12:13], v[172:173]
	s_delay_alu instid0(VALU_DEP_1) | instskip(SKIP_1) | instid1(VALU_DEP_2)
	v_add_f64_e32 v[230:231], v[230:231], v[130:131]
	v_add_f64_e32 v[130:131], v[130:131], v[166:167]
	;; [unrolled: 1-line block ×3, first 2 shown]
	s_delay_alu instid0(VALU_DEP_2) | instskip(SKIP_1) | instid1(VALU_DEP_3)
	v_mul_f64_e32 v[154:155], s[12:13], v[130:131]
	v_mul_f64_e32 v[193:194], s[24:25], v[130:131]
	v_add_f64_e32 v[230:231], v[230:231], v[136:137]
	v_add_f64_e32 v[136:137], v[136:137], v[160:161]
	s_delay_alu instid0(VALU_DEP_3) | instskip(NEXT) | instid1(VALU_DEP_3)
	v_fma_f64 v[70:71], v[128:129], s[20:21], v[193:194]
	v_add_f64_e32 v[230:231], v[230:231], v[156:157]
	s_delay_alu instid0(VALU_DEP_1) | instskip(SKIP_2) | instid1(VALU_DEP_3)
	v_add_f64_e32 v[230:231], v[230:231], v[140:141]
	v_add_f64_e32 v[140:141], v[156:157], v[140:141]
	v_fma_f64 v[156:157], v[128:129], s[28:29], v[154:155]
	v_add_f64_e32 v[230:231], v[230:231], v[160:161]
	v_mul_f64_e32 v[160:161], s[16:17], v[130:131]
	s_delay_alu instid0(VALU_DEP_2) | instskip(SKIP_1) | instid1(VALU_DEP_3)
	v_add_f64_e32 v[230:231], v[230:231], v[144:145]
	v_add_f64_e32 v[144:145], v[152:153], v[144:145]
	v_fma_f64 v[164:165], v[128:129], s[40:41], v[160:161]
	s_delay_alu instid0(VALU_DEP_3) | instskip(NEXT) | instid1(VALU_DEP_1)
	v_add_f64_e32 v[230:231], v[230:231], v[166:167]
	v_add_f64_e32 v[230:231], v[230:231], v[148:149]
	;; [unrolled: 1-line block ×3, first 2 shown]
	ds_store_2addr_b64 v189, v[206:207], v[230:231] offset0:126 offset1:177
	v_mul_f64_e32 v[150:151], s[38:39], v[148:149]
	s_delay_alu instid0(VALU_DEP_1) | instskip(NEXT) | instid1(VALU_DEP_1)
	v_fma_f64 v[152:153], v[146:147], s[36:37], v[150:151]
	v_add_f64_e32 v[152:153], v[12:13], v[152:153]
	s_delay_alu instid0(VALU_DEP_1) | instskip(SKIP_1) | instid1(VALU_DEP_1)
	v_add_f64_e32 v[152:153], v[156:157], v[152:153]
	v_mul_f64_e32 v[156:157], s[12:13], v[148:149]
	v_fma_f64 v[158:159], v[146:147], s[28:29], v[156:157]
	s_delay_alu instid0(VALU_DEP_1) | instskip(NEXT) | instid1(VALU_DEP_1)
	v_add_f64_e32 v[158:159], v[12:13], v[158:159]
	v_add_f64_e32 v[158:159], v[164:165], v[158:159]
	v_mul_f64_e32 v[164:165], s[24:25], v[144:145]
	s_delay_alu instid0(VALU_DEP_1) | instskip(NEXT) | instid1(VALU_DEP_1)
	v_fma_f64 v[166:167], v[142:143], s[30:31], v[164:165]
	v_add_f64_e32 v[152:153], v[166:167], v[152:153]
	v_mul_f64_e32 v[166:167], s[26:27], v[144:145]
	s_delay_alu instid0(VALU_DEP_1) | instskip(NEXT) | instid1(VALU_DEP_1)
	v_fma_f64 v[170:171], v[142:143], s[18:19], v[166:167]
	;; [unrolled: 4-line block ×6, first 2 shown]
	v_add_f64_e32 v[158:159], v[230:231], v[158:159]
	v_mul_f64_e32 v[230:231], s[26:27], v[130:131]
	ds_store_2addr_b64 v197, v[152:153], v[158:159] offset0:100 offset1:151
	v_mul_f64_e32 v[152:153], s[24:25], v[148:149]
	v_fma_f64 v[242:243], v[128:129], s[18:19], v[230:231]
	s_delay_alu instid0(VALU_DEP_2) | instskip(NEXT) | instid1(VALU_DEP_1)
	v_fma_f64 v[158:159], v[146:147], s[30:31], v[152:153]
	v_add_f64_e32 v[158:159], v[12:13], v[158:159]
	s_delay_alu instid0(VALU_DEP_1) | instskip(SKIP_1) | instid1(VALU_DEP_1)
	v_add_f64_e32 v[158:159], v[242:243], v[158:159]
	v_mul_f64_e32 v[242:243], s[16:17], v[148:149]
	v_fma_f64 v[182:183], v[146:147], s[40:41], v[242:243]
	s_delay_alu instid0(VALU_DEP_1) | instskip(NEXT) | instid1(VALU_DEP_1)
	v_add_f64_e32 v[182:183], v[12:13], v[182:183]
	v_add_f64_e32 v[70:71], v[70:71], v[182:183]
	v_mul_f64_e32 v[182:183], s[12:13], v[144:145]
	s_delay_alu instid0(VALU_DEP_1) | instskip(NEXT) | instid1(VALU_DEP_1)
	v_fma_f64 v[72:73], v[142:143], s[6:7], v[182:183]
	v_add_f64_e32 v[72:73], v[72:73], v[158:159]
	v_mul_f64_e32 v[158:159], s[38:39], v[144:145]
	s_delay_alu instid0(VALU_DEP_1) | instskip(NEXT) | instid1(VALU_DEP_1)
	v_fma_f64 v[74:75], v[142:143], s[36:37], v[158:159]
	v_add_f64_e32 v[70:71], v[74:75], v[70:71]
	v_mul_f64_e32 v[74:75], s[38:39], v[136:137]
	s_delay_alu instid0(VALU_DEP_1) | instskip(SKIP_1) | instid1(VALU_DEP_2)
	v_fma_f64 v[76:77], v[132:133], s[36:37], v[74:75]
	v_fma_f64 v[74:75], v[132:133], s[34:35], v[74:75]
	v_add_f64_e32 v[72:73], v[76:77], v[72:73]
	v_mul_f64_e32 v[76:77], s[26:27], v[136:137]
	s_delay_alu instid0(VALU_DEP_1) | instskip(NEXT) | instid1(VALU_DEP_1)
	v_fma_f64 v[78:79], v[132:133], s[22:23], v[76:77]
	v_add_f64_e32 v[70:71], v[78:79], v[70:71]
	v_mul_f64_e32 v[78:79], s[16:17], v[140:141]
	s_delay_alu instid0(VALU_DEP_1) | instskip(NEXT) | instid1(VALU_DEP_1)
	;; [unrolled: 4-line block ×3, first 2 shown]
	v_fma_f64 v[82:83], v[138:139], s[6:7], v[80:81]
	v_add_f64_e32 v[70:71], v[82:83], v[70:71]
	ds_store_2addr_b64 v197, v[72:73], v[70:71] offset0:202 offset1:253
	v_mul_f64_e32 v[70:71], s[26:27], v[148:149]
	v_mul_f64_e32 v[72:73], s[38:39], v[130:131]
	s_delay_alu instid0(VALU_DEP_2) | instskip(SKIP_1) | instid1(VALU_DEP_3)
	v_fma_f64 v[82:83], v[146:147], s[22:23], v[70:71]
	v_fma_f64 v[70:71], v[146:147], s[18:19], v[70:71]
	;; [unrolled: 1-line block ×4, first 2 shown]
	s_delay_alu instid0(VALU_DEP_4) | instskip(NEXT) | instid1(VALU_DEP_4)
	v_add_f64_e32 v[82:83], v[12:13], v[82:83]
	v_add_f64_e32 v[70:71], v[12:13], v[70:71]
	s_delay_alu instid0(VALU_DEP_2) | instskip(NEXT) | instid1(VALU_DEP_2)
	v_add_f64_e32 v[82:83], v[130:131], v[82:83]
	v_add_f64_e32 v[70:71], v[72:73], v[70:71]
	v_mul_f64_e32 v[72:73], s[16:17], v[144:145]
	s_delay_alu instid0(VALU_DEP_1) | instskip(SKIP_1) | instid1(VALU_DEP_2)
	v_fma_f64 v[130:131], v[142:143], s[40:41], v[72:73]
	v_fma_f64 v[72:73], v[142:143], s[14:15], v[72:73]
	v_add_f64_e32 v[82:83], v[130:131], v[82:83]
	s_delay_alu instid0(VALU_DEP_2) | instskip(SKIP_1) | instid1(VALU_DEP_1)
	v_add_f64_e32 v[70:71], v[72:73], v[70:71]
	v_mul_f64_e32 v[72:73], s[12:13], v[136:137]
	v_fma_f64 v[130:131], v[132:133], s[6:7], v[72:73]
	v_fma_f64 v[72:73], v[132:133], s[28:29], v[72:73]
	s_delay_alu instid0(VALU_DEP_2) | instskip(NEXT) | instid1(VALU_DEP_2)
	v_add_f64_e32 v[82:83], v[130:131], v[82:83]
	v_add_f64_e32 v[70:71], v[72:73], v[70:71]
	v_mul_f64_e32 v[72:73], s[24:25], v[140:141]
	s_delay_alu instid0(VALU_DEP_1) | instskip(SKIP_1) | instid1(VALU_DEP_2)
	v_fma_f64 v[130:131], v[138:139], s[30:31], v[72:73]
	v_fma_f64 v[72:73], v[138:139], s[20:21], v[72:73]
	v_add_f64_e32 v[82:83], v[130:131], v[82:83]
	s_delay_alu instid0(VALU_DEP_2) | instskip(SKIP_4) | instid1(VALU_DEP_2)
	v_add_f64_e32 v[70:71], v[72:73], v[70:71]
	v_fma_f64 v[72:73], v[128:129], s[22:23], v[230:231]
	ds_store_2addr_b64 v185, v[82:83], v[70:71] offset0:48 offset1:99
	v_fma_f64 v[70:71], v[146:147], s[20:21], v[152:153]
	v_fma_f64 v[82:83], v[128:129], s[30:31], v[193:194]
	v_add_f64_e32 v[70:71], v[12:13], v[70:71]
	s_delay_alu instid0(VALU_DEP_1) | instskip(SKIP_1) | instid1(VALU_DEP_1)
	v_add_f64_e32 v[70:71], v[72:73], v[70:71]
	v_fma_f64 v[72:73], v[146:147], s[14:15], v[242:243]
	v_add_f64_e32 v[72:73], v[12:13], v[72:73]
	s_delay_alu instid0(VALU_DEP_1) | instskip(SKIP_1) | instid1(VALU_DEP_1)
	v_add_f64_e32 v[72:73], v[82:83], v[72:73]
	v_fma_f64 v[82:83], v[142:143], s[28:29], v[182:183]
	v_add_f64_e32 v[70:71], v[82:83], v[70:71]
	v_fma_f64 v[82:83], v[142:143], s[34:35], v[158:159]
	s_delay_alu instid0(VALU_DEP_2) | instskip(NEXT) | instid1(VALU_DEP_2)
	v_add_f64_e32 v[70:71], v[74:75], v[70:71]
	v_add_f64_e32 v[72:73], v[82:83], v[72:73]
	v_fma_f64 v[74:75], v[132:133], s[18:19], v[76:77]
	v_fma_f64 v[76:77], v[162:163], s[22:23], v[214:215]
	s_delay_alu instid0(VALU_DEP_2) | instskip(SKIP_2) | instid1(VALU_DEP_2)
	v_add_f64_e32 v[72:73], v[74:75], v[72:73]
	v_fma_f64 v[74:75], v[138:139], s[14:15], v[78:79]
	v_add_f64_e32 v[78:79], v[10:11], v[134:135]
	v_add_f64_e32 v[70:71], v[74:75], v[70:71]
	v_fma_f64 v[74:75], v[138:139], s[28:29], v[80:81]
	s_delay_alu instid0(VALU_DEP_1) | instskip(SKIP_4) | instid1(VALU_DEP_2)
	v_add_f64_e32 v[72:73], v[74:75], v[72:73]
	v_fma_f64 v[74:75], v[128:129], s[6:7], v[154:155]
	ds_store_2addr_b64 v185, v[72:73], v[70:71] offset0:150 offset1:201
	v_fma_f64 v[70:71], v[146:147], s[34:35], v[150:151]
	v_fma_f64 v[72:73], v[146:147], s[6:7], v[156:157]
	v_add_f64_e32 v[70:71], v[12:13], v[70:71]
	s_delay_alu instid0(VALU_DEP_2) | instskip(SKIP_1) | instid1(VALU_DEP_3)
	v_add_f64_e32 v[12:13], v[12:13], v[72:73]
	v_fma_f64 v[72:73], v[142:143], s[20:21], v[164:165]
	v_add_f64_e32 v[70:71], v[74:75], v[70:71]
	v_fma_f64 v[74:75], v[128:129], s[14:15], v[160:161]
	s_delay_alu instid0(VALU_DEP_2) | instskip(NEXT) | instid1(VALU_DEP_2)
	v_add_f64_e32 v[70:71], v[72:73], v[70:71]
	v_add_f64_e32 v[12:13], v[74:75], v[12:13]
	v_fma_f64 v[74:75], v[142:143], s[22:23], v[166:167]
	v_fma_f64 v[72:73], v[132:133], s[14:15], v[170:171]
	s_delay_alu instid0(VALU_DEP_2) | instskip(SKIP_1) | instid1(VALU_DEP_3)
	v_add_f64_e32 v[12:13], v[74:75], v[12:13]
	v_fma_f64 v[74:75], v[132:133], s[30:31], v[172:173]
	v_add_f64_e32 v[70:71], v[72:73], v[70:71]
	v_fma_f64 v[72:73], v[138:139], s[18:19], v[189:190]
	s_delay_alu instid0(VALU_DEP_3) | instskip(SKIP_1) | instid1(VALU_DEP_3)
	v_add_f64_e32 v[12:13], v[74:75], v[12:13]
	v_fma_f64 v[74:75], v[138:139], s[36:37], v[206:207]
	v_add_f64_e32 v[70:71], v[72:73], v[70:71]
	v_fma_f64 v[72:73], v[162:163], s[30:31], v[240:241]
	s_delay_alu instid0(VALU_DEP_3) | instskip(SKIP_1) | instid1(VALU_DEP_3)
	v_add_f64_e32 v[12:13], v[74:75], v[12:13]
	v_fma_f64 v[74:75], v[162:163], s[40:41], v[208:209]
	v_add_f64_e32 v[72:73], v[10:11], v[72:73]
	ds_store_2addr_b64 v184, v[12:13], v[70:71] offset0:124 offset1:175
	v_fma_f64 v[12:13], v[162:163], s[36:37], v[180:181]
	v_fma_f64 v[70:71], v[162:163], s[28:29], v[191:192]
	v_add_f64_e32 v[74:75], v[10:11], v[74:75]
	s_delay_alu instid0(VALU_DEP_3) | instskip(NEXT) | instid1(VALU_DEP_3)
	v_add_f64_e32 v[12:13], v[10:11], v[12:13]
	v_add_f64_e32 v[70:71], v[10:11], v[70:71]
	;; [unrolled: 1-line block ×4, first 2 shown]
	v_fma_f64 v[78:79], v[198:199], s[28:29], v[195:196]
	s_delay_alu instid0(VALU_DEP_2) | instskip(NEXT) | instid1(VALU_DEP_2)
	v_add_f64_e32 v[76:77], v[76:77], v[108:109]
	v_add_f64_e32 v[12:13], v[78:79], v[12:13]
	v_fma_f64 v[78:79], v[200:201], s[30:31], v[210:211]
	s_delay_alu instid0(VALU_DEP_3) | instskip(NEXT) | instid1(VALU_DEP_2)
	v_add_f64_e32 v[76:77], v[76:77], v[84:85]
	v_add_f64_e32 v[12:13], v[78:79], v[12:13]
	v_fma_f64 v[78:79], v[202:203], s[40:41], v[218:219]
	s_delay_alu instid0(VALU_DEP_3) | instskip(NEXT) | instid1(VALU_DEP_2)
	v_add_f64_e32 v[76:77], v[76:77], v[120:121]
	v_add_f64_e32 v[12:13], v[78:79], v[12:13]
	v_fma_f64 v[78:79], v[204:205], s[22:23], v[224:225]
	s_delay_alu instid0(VALU_DEP_3) | instskip(SKIP_1) | instid1(VALU_DEP_3)
	v_add_f64_e32 v[76:77], v[76:77], v[92:93]
	v_add_f64_e32 v[92:93], v[48:49], v[102:103]
	;; [unrolled: 1-line block ×3, first 2 shown]
	s_delay_alu instid0(VALU_DEP_3) | instskip(NEXT) | instid1(VALU_DEP_1)
	v_add_f64_e32 v[76:77], v[76:77], v[124:125]
	v_add_f64_e32 v[76:77], v[76:77], v[96:97]
	s_delay_alu instid0(VALU_DEP_1) | instskip(NEXT) | instid1(VALU_DEP_1)
	v_add_f64_e32 v[76:77], v[76:77], v[126:127]
	v_add_f64_e32 v[76:77], v[76:77], v[100:101]
	ds_store_2addr_b64 v179, v[76:77], v[12:13] offset1:51
	v_fma_f64 v[12:13], v[198:199], s[40:41], v[238:239]
	v_add_f64_e32 v[76:77], v[40:41], v[106:107]
	s_delay_alu instid0(VALU_DEP_2) | instskip(SKIP_1) | instid1(VALU_DEP_3)
	v_add_f64_e32 v[12:13], v[12:13], v[70:71]
	v_fma_f64 v[70:71], v[198:199], s[18:19], v[244:245]
	v_mul_f64_e32 v[96:97], s[24:25], v[76:77]
	s_delay_alu instid0(VALU_DEP_2) | instskip(SKIP_1) | instid1(VALU_DEP_1)
	v_add_f64_e32 v[70:71], v[70:71], v[72:73]
	v_fma_f64 v[72:73], v[200:201], s[18:19], v[246:247]
	v_add_f64_e32 v[12:13], v[72:73], v[12:13]
	v_fma_f64 v[72:73], v[200:201], s[6:7], v[248:249]
	s_delay_alu instid0(VALU_DEP_1) | instskip(SKIP_1) | instid1(VALU_DEP_1)
	v_add_f64_e32 v[70:71], v[72:73], v[70:71]
	v_fma_f64 v[72:73], v[202:203], s[20:21], v[250:251]
	v_add_f64_e32 v[12:13], v[72:73], v[12:13]
	v_fma_f64 v[72:73], v[202:203], s[36:37], v[252:253]
	s_delay_alu instid0(VALU_DEP_1) | instskip(SKIP_1) | instid1(VALU_DEP_1)
	v_add_f64_e32 v[70:71], v[72:73], v[70:71]
	v_fma_f64 v[72:73], v[204:205], s[34:35], v[254:255]
	v_add_f64_e32 v[12:13], v[72:73], v[12:13]
	v_fma_f64 v[72:73], v[204:205], s[40:41], v[234:235]
	s_delay_alu instid0(VALU_DEP_1) | instskip(SKIP_4) | instid1(VALU_DEP_2)
	v_add_f64_e32 v[70:71], v[72:73], v[70:71]
	v_fma_f64 v[72:73], v[200:201], s[40:41], v[222:223]
	ds_store_2addr_b64 v179, v[12:13], v[70:71] offset0:102 offset1:153
	v_fma_f64 v[12:13], v[198:199], s[20:21], v[212:213]
	v_fma_f64 v[70:71], v[198:199], s[34:35], v[216:217]
	v_add_f64_e32 v[12:13], v[12:13], v[74:75]
	s_delay_alu instid0(VALU_DEP_2) | instskip(SKIP_2) | instid1(VALU_DEP_3)
	v_add_f64_e32 v[10:11], v[70:71], v[10:11]
	v_fma_f64 v[70:71], v[200:201], s[36:37], v[220:221]
	v_add_f64_e64 v[74:75], v[186:187], -v[110:111]
	v_add_f64_e32 v[10:11], v[72:73], v[10:11]
	s_delay_alu instid0(VALU_DEP_3) | instskip(SKIP_2) | instid1(VALU_DEP_2)
	v_add_f64_e32 v[12:13], v[70:71], v[12:13]
	v_fma_f64 v[70:71], v[202:203], s[22:23], v[226:227]
	v_fma_f64 v[72:73], v[202:203], s[6:7], v[228:229]
	v_add_f64_e32 v[12:13], v[70:71], v[12:13]
	s_delay_alu instid0(VALU_DEP_2) | instskip(SKIP_2) | instid1(VALU_DEP_2)
	v_add_f64_e32 v[10:11], v[72:73], v[10:11]
	v_fma_f64 v[70:71], v[204:205], s[6:7], v[232:233]
	v_fma_f64 v[72:73], v[204:205], s[30:31], v[236:237]
	v_add_f64_e32 v[12:13], v[70:71], v[12:13]
	s_delay_alu instid0(VALU_DEP_2)
	v_add_f64_e32 v[10:11], v[72:73], v[10:11]
	v_add_f64_e64 v[70:71], v[118:119], -v[114:115]
	v_add_f64_e32 v[72:73], v[32:33], v[112:113]
	ds_store_2addr_b64 v179, v[12:13], v[10:11] offset0:204 offset1:255
	v_add_f64_e32 v[10:11], v[8:9], v[122:123]
	v_add_f64_e32 v[12:13], v[122:123], v[116:117]
	v_mul_f64_e32 v[82:83], s[12:13], v[72:73]
	s_delay_alu instid0(VALU_DEP_3) | instskip(NEXT) | instid1(VALU_DEP_3)
	v_add_f64_e32 v[10:11], v[10:11], v[32:33]
	v_mul_f64_e32 v[78:79], s[38:39], v[12:13]
	s_delay_alu instid0(VALU_DEP_3) | instskip(NEXT) | instid1(VALU_DEP_3)
	v_fma_f64 v[84:85], v[74:75], s[28:29], v[82:83]
	v_add_f64_e32 v[10:11], v[10:11], v[40:41]
	s_delay_alu instid0(VALU_DEP_3) | instskip(NEXT) | instid1(VALU_DEP_2)
	v_fma_f64 v[80:81], v[70:71], s[36:37], v[78:79]
	v_add_f64_e32 v[10:11], v[10:11], v[48:49]
	s_delay_alu instid0(VALU_DEP_2) | instskip(NEXT) | instid1(VALU_DEP_2)
	v_add_f64_e32 v[80:81], v[8:9], v[80:81]
	v_add_f64_e32 v[10:11], v[10:11], v[90:91]
	s_delay_alu instid0(VALU_DEP_2) | instskip(SKIP_2) | instid1(VALU_DEP_4)
	v_add_f64_e32 v[80:81], v[84:85], v[80:81]
	v_add_f64_e64 v[84:85], v[168:169], -v[104:105]
	v_add_f64_e32 v[90:91], v[90:91], v[94:95]
	v_add_f64_e32 v[10:11], v[10:11], v[94:95]
	v_mul_f64_e32 v[94:95], s[16:17], v[92:93]
	s_delay_alu instid0(VALU_DEP_4) | instskip(NEXT) | instid1(VALU_DEP_4)
	v_fma_f64 v[100:101], v[84:85], s[30:31], v[96:97]
	v_mul_f64_e32 v[88:89], s[26:27], v[90:91]
	s_delay_alu instid0(VALU_DEP_4) | instskip(NEXT) | instid1(VALU_DEP_3)
	v_add_f64_e32 v[10:11], v[10:11], v[102:103]
	v_add_f64_e32 v[80:81], v[100:101], v[80:81]
	v_fma_f64 v[100:101], v[98:99], s[40:41], v[94:95]
	s_delay_alu instid0(VALU_DEP_3) | instskip(SKIP_1) | instid1(VALU_DEP_3)
	v_add_f64_e32 v[10:11], v[10:11], v[106:107]
	v_mul_f64_e32 v[106:107], s[26:27], v[72:73]
	v_add_f64_e32 v[80:81], v[100:101], v[80:81]
	v_fma_f64 v[100:101], v[86:87], s[22:23], v[88:89]
	s_delay_alu instid0(VALU_DEP_4) | instskip(NEXT) | instid1(VALU_DEP_4)
	v_add_f64_e32 v[10:11], v[10:11], v[112:113]
	v_fma_f64 v[108:109], v[74:75], s[18:19], v[106:107]
	s_delay_alu instid0(VALU_DEP_3) | instskip(SKIP_1) | instid1(VALU_DEP_4)
	v_add_f64_e32 v[80:81], v[100:101], v[80:81]
	v_mul_f64_e32 v[100:101], s[16:17], v[72:73]
	v_add_f64_e32 v[10:11], v[10:11], v[116:117]
	s_delay_alu instid0(VALU_DEP_2) | instskip(SKIP_2) | instid1(VALU_DEP_1)
	v_fma_f64 v[102:103], v[74:75], s[40:41], v[100:101]
	ds_store_2addr_b64 v175, v[10:11], v[80:81] offset0:98 offset1:149
	v_mul_f64_e32 v[10:11], s[12:13], v[12:13]
	v_fma_f64 v[80:81], v[70:71], s[28:29], v[10:11]
	v_fma_f64 v[10:11], v[70:71], s[6:7], v[10:11]
	s_delay_alu instid0(VALU_DEP_2) | instskip(NEXT) | instid1(VALU_DEP_2)
	v_add_f64_e32 v[80:81], v[8:9], v[80:81]
	v_add_f64_e32 v[10:11], v[8:9], v[10:11]
	s_delay_alu instid0(VALU_DEP_2) | instskip(SKIP_1) | instid1(VALU_DEP_1)
	v_add_f64_e32 v[80:81], v[102:103], v[80:81]
	v_mul_f64_e32 v[102:103], s[24:25], v[12:13]
	v_fma_f64 v[104:105], v[70:71], s[30:31], v[102:103]
	s_delay_alu instid0(VALU_DEP_1) | instskip(NEXT) | instid1(VALU_DEP_1)
	v_add_f64_e32 v[104:105], v[8:9], v[104:105]
	v_add_f64_e32 v[104:105], v[108:109], v[104:105]
	v_mul_f64_e32 v[108:109], s[26:27], v[76:77]
	s_delay_alu instid0(VALU_DEP_1) | instskip(NEXT) | instid1(VALU_DEP_1)
	v_fma_f64 v[110:111], v[84:85], s[18:19], v[108:109]
	v_add_f64_e32 v[80:81], v[110:111], v[80:81]
	v_mul_f64_e32 v[110:111], s[12:13], v[76:77]
	s_delay_alu instid0(VALU_DEP_1) | instskip(NEXT) | instid1(VALU_DEP_1)
	v_fma_f64 v[112:113], v[84:85], s[6:7], v[110:111]
	;; [unrolled: 4-line block ×6, first 2 shown]
	v_add_f64_e32 v[104:105], v[120:121], v[104:105]
	v_mul_f64_e32 v[120:121], s[24:25], v[72:73]
	v_mul_f64_e32 v[72:73], s[38:39], v[72:73]
	ds_store_2addr_b64 v175, v[80:81], v[104:105] offset0:200 offset1:251
	v_mul_f64_e32 v[80:81], s[16:17], v[12:13]
	v_fma_f64 v[122:123], v[74:75], s[20:21], v[120:121]
	v_mul_f64_e32 v[12:13], s[26:27], v[12:13]
	v_fma_f64 v[124:125], v[74:75], s[34:35], v[72:73]
	v_fma_f64 v[72:73], v[74:75], s[36:37], v[72:73]
	;; [unrolled: 1-line block ×4, first 2 shown]
	s_delay_alu instid0(VALU_DEP_2) | instskip(NEXT) | instid1(VALU_DEP_2)
	v_add_f64_e32 v[104:105], v[8:9], v[104:105]
	v_add_f64_e32 v[80:81], v[8:9], v[80:81]
	s_delay_alu instid0(VALU_DEP_2) | instskip(SKIP_2) | instid1(VALU_DEP_2)
	v_add_f64_e32 v[104:105], v[122:123], v[104:105]
	v_fma_f64 v[122:123], v[70:71], s[22:23], v[12:13]
	v_fma_f64 v[12:13], v[70:71], s[18:19], v[12:13]
	v_add_f64_e32 v[122:123], v[8:9], v[122:123]
	s_delay_alu instid0(VALU_DEP_2) | instskip(NEXT) | instid1(VALU_DEP_2)
	v_add_f64_e32 v[12:13], v[8:9], v[12:13]
	v_add_f64_e32 v[122:123], v[124:125], v[122:123]
	v_mul_f64_e32 v[124:125], s[38:39], v[76:77]
	v_mul_f64_e32 v[76:77], s[16:17], v[76:77]
	s_delay_alu instid0(VALU_DEP_4) | instskip(NEXT) | instid1(VALU_DEP_3)
	v_add_f64_e32 v[12:13], v[72:73], v[12:13]
	v_fma_f64 v[126:127], v[84:85], s[36:37], v[124:125]
	v_fma_f64 v[72:73], v[84:85], s[34:35], v[124:125]
	s_delay_alu instid0(VALU_DEP_2) | instskip(SKIP_2) | instid1(VALU_DEP_2)
	v_add_f64_e32 v[104:105], v[126:127], v[104:105]
	v_fma_f64 v[126:127], v[84:85], s[40:41], v[76:77]
	v_fma_f64 v[76:77], v[84:85], s[14:15], v[76:77]
	v_add_f64_e32 v[122:123], v[126:127], v[122:123]
	v_mul_f64_e32 v[126:127], s[26:27], v[92:93]
	v_mul_f64_e32 v[92:93], s[12:13], v[92:93]
	s_delay_alu instid0(VALU_DEP_4) | instskip(NEXT) | instid1(VALU_DEP_3)
	v_add_f64_e32 v[12:13], v[76:77], v[12:13]
	v_fma_f64 v[128:129], v[98:99], s[22:23], v[126:127]
	v_fma_f64 v[76:77], v[98:99], s[18:19], v[126:127]
	s_delay_alu instid0(VALU_DEP_2) | instskip(SKIP_1) | instid1(VALU_DEP_1)
	v_add_f64_e32 v[104:105], v[128:129], v[104:105]
	v_fma_f64 v[128:129], v[98:99], s[6:7], v[92:93]
	v_add_f64_e32 v[122:123], v[128:129], v[122:123]
	v_mul_f64_e32 v[128:129], s[12:13], v[90:91]
	v_mul_f64_e32 v[90:91], s[24:25], v[90:91]
	s_delay_alu instid0(VALU_DEP_2) | instskip(NEXT) | instid1(VALU_DEP_1)
	v_fma_f64 v[130:131], v[86:87], s[6:7], v[128:129]
	v_add_f64_e32 v[104:105], v[130:131], v[104:105]
	s_delay_alu instid0(VALU_DEP_3) | instskip(NEXT) | instid1(VALU_DEP_1)
	v_fma_f64 v[130:131], v[86:87], s[30:31], v[90:91]
	v_add_f64_e32 v[122:123], v[130:131], v[122:123]
	ds_store_2addr_b64 v176, v[104:105], v[122:123] offset0:46 offset1:97
	v_fma_f64 v[104:105], v[74:75], s[30:31], v[120:121]
	s_delay_alu instid0(VALU_DEP_1) | instskip(NEXT) | instid1(VALU_DEP_1)
	v_add_f64_e32 v[80:81], v[104:105], v[80:81]
	v_add_f64_e32 v[72:73], v[72:73], v[80:81]
	s_delay_alu instid0(VALU_DEP_1) | instskip(SKIP_1) | instid1(VALU_DEP_1)
	v_add_f64_e32 v[72:73], v[76:77], v[72:73]
	v_fma_f64 v[76:77], v[98:99], s[28:29], v[92:93]
	v_add_f64_e32 v[12:13], v[76:77], v[12:13]
	v_fma_f64 v[76:77], v[86:87], s[28:29], v[128:129]
	s_delay_alu instid0(VALU_DEP_1) | instskip(SKIP_1) | instid1(VALU_DEP_1)
	v_add_f64_e32 v[72:73], v[76:77], v[72:73]
	v_fma_f64 v[76:77], v[86:87], s[20:21], v[90:91]
	v_add_f64_e32 v[12:13], v[76:77], v[12:13]
	ds_store_2addr_b64 v176, v[12:13], v[72:73] offset0:148 offset1:199
	v_fma_f64 v[12:13], v[74:75], s[14:15], v[100:101]
	v_fma_f64 v[72:73], v[74:75], s[22:23], v[106:107]
	s_delay_alu instid0(VALU_DEP_2) | instskip(SKIP_1) | instid1(VALU_DEP_1)
	v_add_f64_e32 v[10:11], v[12:13], v[10:11]
	v_fma_f64 v[12:13], v[70:71], s[20:21], v[102:103]
	v_add_f64_e32 v[12:13], v[8:9], v[12:13]
	s_delay_alu instid0(VALU_DEP_1) | instskip(SKIP_1) | instid1(VALU_DEP_1)
	v_add_f64_e32 v[12:13], v[72:73], v[12:13]
	v_fma_f64 v[72:73], v[84:85], s[22:23], v[108:109]
	v_add_f64_e32 v[10:11], v[72:73], v[10:11]
	v_fma_f64 v[72:73], v[84:85], s[28:29], v[110:111]
	s_delay_alu instid0(VALU_DEP_1) | instskip(SKIP_1) | instid1(VALU_DEP_1)
	v_add_f64_e32 v[12:13], v[72:73], v[12:13]
	v_fma_f64 v[72:73], v[98:99], s[30:31], v[112:113]
	v_add_f64_e32 v[10:11], v[72:73], v[10:11]
	v_fma_f64 v[72:73], v[98:99], s[34:35], v[114:115]
	s_delay_alu instid0(VALU_DEP_1) | instskip(SKIP_1) | instid1(VALU_DEP_1)
	v_add_f64_e32 v[12:13], v[72:73], v[12:13]
	v_fma_f64 v[72:73], v[86:87], s[36:37], v[116:117]
	v_add_f64_e32 v[10:11], v[72:73], v[10:11]
	v_fma_f64 v[72:73], v[86:87], s[14:15], v[118:119]
	s_delay_alu instid0(VALU_DEP_1) | instskip(SKIP_2) | instid1(VALU_DEP_1)
	v_add_f64_e32 v[12:13], v[72:73], v[12:13]
	ds_store_2addr_b64 v177, v[12:13], v[10:11] offset0:122 offset1:173
	v_fma_f64 v[10:11], v[70:71], s[34:35], v[78:79]
	v_add_f64_e32 v[8:9], v[8:9], v[10:11]
	v_fma_f64 v[10:11], v[74:75], s[6:7], v[82:83]
	s_delay_alu instid0(VALU_DEP_1) | instskip(SKIP_1) | instid1(VALU_DEP_1)
	v_add_f64_e32 v[8:9], v[10:11], v[8:9]
	v_fma_f64 v[10:11], v[84:85], s[20:21], v[96:97]
	v_add_f64_e32 v[8:9], v[10:11], v[8:9]
	v_fma_f64 v[10:11], v[98:99], s[14:15], v[94:95]
	s_delay_alu instid0(VALU_DEP_1) | instskip(SKIP_1) | instid1(VALU_DEP_1)
	v_add_f64_e32 v[8:9], v[10:11], v[8:9]
	v_fma_f64 v[10:11], v[86:87], s[18:19], v[88:89]
	v_add_f64_e32 v[8:9], v[10:11], v[8:9]
	ds_store_b64 v174, v[8:9] offset:13056
	global_wb scope:SCOPE_SE
	s_wait_dscnt 0x0
	s_barrier_signal -1
	s_barrier_wait -1
	global_inv scope:SCOPE_SE
	s_and_saveexec_b32 s6, vcc_lo
	s_cbranch_execz .LBB0_19
; %bb.18:
	v_dual_mov_b32 v192, v188 :: v_dual_add_nc_u32 v169, 0x1fe, v178
	v_add_nc_u32_e32 v227, 0x2ca, v178
	v_add_nc_u32_e32 v225, 0x297, v178
	;; [unrolled: 1-line block ×3, first 2 shown]
	s_delay_alu instid0(VALU_DEP_4)
	v_dual_mov_b32 v13, 0 :: v_dual_lshlrev_b32 v12, 1, v169
	v_mad_co_u64_u32 v[182:183], null, s8, v192, 0
	v_mad_co_u64_u32 v[217:218], null, s8, v227, 0
	v_add_nc_u32_e32 v191, 51, v178
	v_add_nc_u32_e32 v255, 0x1cb, v178
	v_lshlrev_b64_e32 v[8:9], 4, v[12:13]
	v_mad_co_u64_u32 v[213:214], null, s8, v225, 0
	v_mov_b32_e32 v174, v183
	v_mad_co_u64_u32 v[180:181], null, s8, v191, 0
	v_lshlrev_b32_e32 v12, 1, v255
	v_add_co_u32 v98, vcc_lo, s4, v8
	s_wait_alu 0xfffd
	v_add_co_ci_u32_e32 v99, vcc_lo, s5, v9, vcc_lo
	v_add_nc_u32_e32 v193, 0x99, v178
	v_mov_b32_e32 v167, v181
	v_lshlrev_b64_e32 v[10:11], 4, v[12:13]
	v_mad_co_u64_u32 v[165:166], null, s8, v178, 0
	v_mad_co_u64_u32 v[205:206], null, s8, v187, 0
	v_add_nc_u32_e32 v195, 0xff, v178
	s_delay_alu instid0(VALU_DEP_4)
	v_add_co_u32 v74, vcc_lo, s4, v10
	s_wait_alu 0xfffd
	v_add_co_ci_u32_e32 v75, vcc_lo, s5, v11, vcc_lo
	s_clause 0x1
	global_load_b128 v[70:73], v[98:99], off offset:8704
	global_load_b128 v[8:11], v[74:75], off offset:8704
	v_mad_co_u64_u32 v[184:185], null, s8, v193, 0
	v_add_nc_u32_e32 v12, 0x198, v178
	v_mad_co_u64_u32 v[189:190], null, s9, v178, v[166:167]
	v_mov_b32_e32 v166, v206
	v_mad_co_u64_u32 v[203:204], null, s8, v195, 0
	s_delay_alu instid0(VALU_DEP_4)
	v_dual_mov_b32 v175, v185 :: v_dual_lshlrev_b32 v12, 1, v12
	v_add_nc_u32_e32 v198, 0x462, v178
	v_add_nc_u32_e32 v228, 0x4fb, v178
	;; [unrolled: 1-line block ×3, first 2 shown]
	v_dual_mov_b32 v177, v204 :: v_dual_add_nc_u32 v200, 0x495, v178
	v_lshlrev_b64_e32 v[76:77], 4, v[12:13]
	v_mad_co_u64_u32 v[207:208], null, s8, v198, 0
	v_mad_co_u64_u32 v[219:220], null, s8, v228, 0
	v_add_nc_u32_e32 v194, 0xcc, v178
	v_add_nc_u32_e32 v12, 0x165, v178
	v_add_co_u32 v82, vcc_lo, s4, v76
	v_mov_b32_e32 v181, v208
	s_delay_alu instid0(VALU_DEP_4)
	v_mad_co_u64_u32 v[201:202], null, s8, v194, 0
	s_wait_alu 0xfffd
	v_add_co_ci_u32_e32 v83, vcc_lo, s5, v77, vcc_lo
	v_add_nc_u32_e32 v255, 0x132, v178
	v_mad_co_u64_u32 v[209:210], null, s8, v199, 0
	v_lshlrev_b32_e32 v12, 1, v12
	v_mad_co_u64_u32 v[211:212], null, s8, v200, 0
	s_clause 0x3
	global_load_b128 v[78:81], v[74:75], off offset:8720
	global_load_b128 v[86:89], v[82:83], off offset:8704
	;; [unrolled: 1-line block ×4, first 2 shown]
	v_lshlrev_b64_e32 v[82:83], 4, v[12:13]
	v_add_nc_u32_e32 v226, 0x4c8, v178
	v_mov_b32_e32 v176, v202
	v_dual_mov_b32 v183, v212 :: v_dual_lshlrev_b32 v12, 1, v255
	v_add_nc_u32_e32 v234, 0x2fd, v178
	s_delay_alu instid0(VALU_DEP_4) | instskip(NEXT) | instid1(VALU_DEP_3)
	v_mad_co_u64_u32 v[215:216], null, s8, v226, 0
	v_lshlrev_b64_e32 v[92:93], 4, v[12:13]
	v_lshlrev_b32_e32 v12, 1, v195
	v_add_co_u32 v90, vcc_lo, s4, v82
	s_wait_alu 0xfffd
	v_add_co_ci_u32_e32 v91, vcc_lo, s5, v83, vcc_lo
	s_delay_alu instid0(VALU_DEP_3)
	v_lshlrev_b64_e32 v[106:107], 4, v[12:13]
	v_lshlrev_b32_e32 v12, 1, v194
	v_mad_co_u64_u32 v[221:222], null, s8, v234, 0
	s_clause 0x1
	global_load_b128 v[82:85], v[90:91], off offset:8704
	global_load_b128 v[94:97], v[90:91], off offset:8720
	v_lshlrev_b64_e32 v[112:113], 4, v[12:13]
	v_lshlrev_b32_e32 v12, 1, v193
	v_add_co_u32 v100, vcc_lo, s4, v92
	s_wait_alu 0xfffd
	v_add_co_ci_u32_e32 v101, vcc_lo, s5, v93, vcc_lo
	s_delay_alu instid0(VALU_DEP_3) | instskip(SKIP_4) | instid1(VALU_DEP_3)
	v_lshlrev_b64_e32 v[120:121], 4, v[12:13]
	v_lshlrev_b32_e32 v12, 1, v192
	v_add_co_u32 v110, vcc_lo, s4, v106
	s_wait_alu 0xfffd
	v_add_co_ci_u32_e32 v111, vcc_lo, s5, v107, vcc_lo
	v_lshlrev_b64_e32 v[126:127], 4, v[12:13]
	v_lshlrev_b32_e32 v12, 1, v191
	v_mad_co_u64_u32 v[190:191], null, s9, v191, v[167:168]
	v_mad_co_u64_u32 v[191:192], null, s9, v192, v[174:175]
	v_add_nc_u32_e32 v236, 0x52e, v178
	v_mov_b32_e32 v174, v214
	v_mad_co_u64_u32 v[192:193], null, s9, v193, v[175:176]
	v_add_co_u32 v118, vcc_lo, s4, v112
	s_wait_alu 0xfffd
	v_add_co_ci_u32_e32 v119, vcc_lo, s5, v113, vcc_lo
	v_mad_co_u64_u32 v[223:224], null, s8, v236, 0
	s_clause 0x5
	global_load_b128 v[90:93], v[100:101], off offset:8720
	global_load_b128 v[122:125], v[118:119], off offset:8704
	;; [unrolled: 1-line block ×6, first 2 shown]
	v_mov_b32_e32 v167, v210
	v_mov_b32_e32 v185, v192
	v_lshlrev_b64_e32 v[118:119], 4, v[12:13]
	v_lshlrev_b32_e32 v12, 1, v178
	v_add_co_u32 v120, vcc_lo, s4, v120
	v_mad_co_u64_u32 v[193:194], null, s9, v194, v[176:177]
	s_wait_alu 0xfffd
	v_add_co_ci_u32_e32 v121, vcc_lo, s5, v121, vcc_lo
	v_mad_co_u64_u32 v[194:195], null, s9, v195, v[177:178]
	v_add_co_u32 v126, vcc_lo, s4, v126
	v_mad_co_u64_u32 v[195:196], null, s9, v187, v[166:167]
	v_mov_b32_e32 v187, v224
	v_lshlrev_b64_e32 v[12:13], 4, v[12:13]
	s_wait_alu 0xfffd
	v_add_co_ci_u32_e32 v127, vcc_lo, s5, v127, vcc_lo
	v_add_co_u32 v118, vcc_lo, s4, v118
	s_wait_alu 0xfffd
	v_add_co_ci_u32_e32 v119, vcc_lo, s5, v119, vcc_lo
	v_add_co_u32 v12, vcc_lo, s4, v12
	s_wait_alu 0xfffd
	v_add_co_ci_u32_e32 v13, vcc_lo, s5, v13, vcc_lo
	s_clause 0x7
	global_load_b128 v[146:149], v[120:121], off offset:8704
	global_load_b128 v[150:153], v[120:121], off offset:8720
	global_load_b128 v[138:141], v[126:127], off offset:8720
	global_load_b128 v[142:145], v[126:127], off offset:8704
	global_load_b128 v[134:137], v[118:119], off offset:8704
	global_load_b128 v[130:133], v[118:119], off offset:8720
	global_load_b128 v[158:161], v[12:13], off offset:8704
	global_load_b128 v[154:157], v[12:13], off offset:8720
	scratch_load_b64 v[12:13], off, off offset:256 th:TH_LOAD_LU ; 8-byte Folded Reload
	v_mad_co_u64_u32 v[196:197], null, s9, v198, v[181:182]
	v_mov_b32_e32 v175, v216
	v_dual_mov_b32 v166, v218 :: v_dual_add_nc_u32 v15, 0x1c00, v179
	v_add_nc_u32_e32 v238, 0x330, v178
	v_add_nc_u32_e32 v16, 0x2c00, v179
	;; [unrolled: 1-line block ×3, first 2 shown]
	v_mov_b32_e32 v208, v196
	v_mad_co_u64_u32 v[197:198], null, s9, v199, v[167:168]
	v_mad_co_u64_u32 v[198:199], null, s9, v200, v[183:184]
	v_mov_b32_e32 v167, v220
	v_mad_co_u64_u32 v[232:233], null, s8, v238, 0
	v_add_nc_u32_e32 v14, 0xc00, v179
	v_mov_b32_e32 v210, v197
	v_mad_co_u64_u32 v[199:200], null, s9, v225, v[174:175]
	v_mad_co_u64_u32 v[225:226], null, s9, v226, v[175:176]
	v_mov_b32_e32 v212, v198
	v_mad_co_u64_u32 v[226:227], null, s9, v227, v[166:167]
	v_mov_b32_e32 v166, v189
	ds_load_2addr_b64 v[170:173], v15 offset0:124 offset1:175
	v_mad_co_u64_u32 v[227:228], null, s9, v228, v[167:168]
	v_mov_b32_e32 v167, v222
	ds_load_2addr_b64 v[174:177], v16 offset0:122 offset1:173
	v_dual_mov_b32 v202, v193 :: v_dual_add_nc_u32 v17, 0x1800, v179
	v_mov_b32_e32 v181, v190
	v_mad_co_u64_u32 v[234:235], null, s9, v234, v[167:168]
	v_mov_b32_e32 v167, v233
	v_mad_co_u64_u32 v[235:236], null, s9, v236, v[187:188]
	v_mov_b32_e32 v183, v191
	ds_load_b64 v[162:163], v179 offset:13056
	v_mad_co_u64_u32 v[238:239], null, s9, v238, v[167:168]
	v_add_nc_u32_e32 v164, 0x800, v179
	v_add_nc_u32_e32 v186, 0x2800, v179
	ds_load_2addr_b64 v[118:121], v179 offset0:204 offset1:255
	ds_load_2addr_b64 v[126:129], v179 offset0:102 offset1:153
	v_dual_mov_b32 v204, v194 :: v_dual_add_nc_u32 v247, 0x2000, v179
	ds_load_2addr_b64 v[189:192], v179 offset1:51
	v_dual_mov_b32 v214, v199 :: v_dual_add_nc_u32 v15, 0x561, v178
	ds_load_2addr_b64 v[197:200], v17 offset0:150 offset1:201
	v_mov_b32_e32 v222, v234
	v_lshlrev_b64_e32 v[179:180], 4, v[180:181]
	v_mov_b32_e32 v224, v235
	v_mov_b32_e32 v220, v227
	;; [unrolled: 1-line block ×5, first 2 shown]
	v_lshlrev_b64_e32 v[165:166], 4, v[165:166]
	ds_load_2addr_b64 v[193:196], v14 offset0:126 offset1:177
	v_mov_b32_e32 v233, v238
	v_mad_co_u64_u32 v[236:237], null, s8, v255, 0
	s_wait_loadcnt 0x16
	v_mul_f64_e32 v[228:229], v[68:69], v[72:73]
	s_wait_dscnt 0x7
	v_mul_f64_e32 v[72:73], v[172:173], v[72:73]
	s_wait_loadcnt 0x15
	v_mul_f64_e32 v[230:231], v[66:67], v[10:11]
	v_mul_f64_e32 v[10:11], v[170:171], v[10:11]
	s_wait_loadcnt 0x14
	v_mul_f64_e32 v[225:226], v[64:65], v[80:81]
	v_fma_f64 v[227:228], v[70:71], v[172:173], -v[228:229]
	v_fma_f64 v[239:240], v[68:69], v[70:71], v[72:73]
	s_wait_loadcnt 0x12
	v_mul_f64_e32 v[72:73], v[62:63], v[76:77]
	s_wait_dscnt 0x6
	v_mul_f64_e32 v[234:235], v[174:175], v[76:77]
	v_lshlrev_b64_e32 v[76:77], 4, v[182:183]
	v_lshlrev_b64_e32 v[181:182], 4, v[184:185]
	;; [unrolled: 1-line block ×3, first 2 shown]
	v_mul_f64_e32 v[201:202], v[60:61], v[88:89]
	v_fma_f64 v[229:230], v[8:9], v[170:171], -v[230:231]
	ds_load_2addr_b64 v[170:173], v186 offset0:148 offset1:199
	s_wait_dscnt 0x2
	v_mul_f64_e32 v[88:89], v[199:200], v[88:89]
	v_fma_f64 v[241:242], v[66:67], v[8:9], v[10:11]
	ds_load_2addr_b64 v[8:11], v17 offset0:48 offset1:99
	v_mul_f64_e32 v[80:81], v[176:177], v[80:81]
	ds_load_2addr_b64 v[68:71], v164 offset0:152 offset1:203
	s_wait_loadcnt 0x10
	v_mul_f64_e32 v[245:246], v[58:59], v[84:85]
	v_mul_f64_e32 v[84:85], v[197:198], v[84:85]
	v_fma_f64 v[176:177], v[78:79], v[176:177], -v[225:226]
	v_fma_f64 v[174:175], v[74:75], v[174:175], -v[72:73]
	v_lshlrev_b64_e32 v[72:73], 4, v[203:204]
	v_lshlrev_b64_e32 v[203:204], 4, v[205:206]
	s_wait_loadcnt 0xf
	v_mul_f64_e32 v[205:206], v[56:57], v[96:97]
	s_wait_dscnt 0x2
	v_mul_f64_e32 v[96:97], v[172:173], v[96:97]
	v_fma_f64 v[16:17], v[86:87], v[199:200], -v[201:202]
	v_fma_f64 v[62:63], v[62:63], v[74:75], v[234:235]
	v_mad_co_u64_u32 v[234:235], null, s8, v15, 0
	v_fma_f64 v[86:87], v[60:61], v[86:87], v[88:89]
	s_wait_dscnt 0x0
	v_add_f64_e32 v[32:33], v[70:71], v[229:230]
	s_wait_loadcnt 0xe
	v_mul_f64_e32 v[60:61], v[54:55], v[92:93]
	v_mul_f64_e32 v[88:89], v[170:171], v[92:93]
	v_lshlrev_b64_e32 v[92:93], 4, v[207:208]
	v_lshlrev_b64_e32 v[207:208], 4, v[211:212]
	v_mul_f64_e32 v[211:212], v[30:31], v[104:105]
	v_fma_f64 v[80:81], v[64:65], v[78:79], v[80:81]
	ds_load_2addr_b64 v[64:67], v186 offset0:46 offset1:97
	v_fma_f64 v[22:23], v[82:83], v[197:198], -v[245:246]
	scratch_load_b128 v[197:200], off, off offset:64 th:TH_LOAD_LU ; 16-byte Folded Reload
	v_fma_f64 v[82:83], v[58:59], v[82:83], v[84:85]
	s_wait_loadcnt 0xd
	v_mul_f64_e32 v[84:85], v[52:53], v[100:101]
	v_mul_f64_e32 v[100:101], v[10:11], v[100:101]
	v_fma_f64 v[172:173], v[94:95], v[172:173], -v[205:206]
	v_fma_f64 v[94:95], v[56:57], v[94:95], v[96:97]
	s_wait_loadcnt 0xc
	v_mul_f64_e32 v[96:97], v[8:9], v[108:109]
	v_lshlrev_b64_e32 v[56:57], 4, v[215:216]
	s_wait_loadcnt 0x9
	v_mul_f64_e32 v[167:168], v[42:43], v[148:149]
	v_add_f64_e32 v[32:33], v[32:33], v[176:177]
	s_wait_loadcnt 0x1
	v_add_co_u32 v12, vcc_lo, s10, v12
	s_wait_alu 0xfffd
	v_add_co_ci_u32_e32 v13, vcc_lo, s11, v13, vcc_lo
	v_fma_f64 v[170:171], v[90:91], v[170:171], -v[60:61]
	s_delay_alu instid0(VALU_DEP_3) | instskip(SKIP_1) | instid1(VALU_DEP_3)
	v_add_co_u32 v165, vcc_lo, v12, v165
	s_wait_alu 0xfffd
	v_add_co_ci_u32_e32 v166, vcc_lo, v13, v166, vcc_lo
	v_add_co_u32 v179, vcc_lo, v12, v179
	s_wait_alu 0xfffd
	v_add_co_ci_u32_e32 v180, vcc_lo, v13, v180, vcc_lo
	;; [unrolled: 3-line block ×7, first 2 shown]
	v_lshlrev_b64_e32 v[203:204], 4, v[209:210]
	v_lshlrev_b64_e32 v[209:210], 4, v[213:214]
	v_add_co_u32 v213, vcc_lo, v12, v92
	s_wait_alu 0xfffd
	v_add_co_ci_u32_e32 v214, vcc_lo, v13, v93, vcc_lo
	v_mul_f64_e32 v[92:93], v[162:163], v[104:105]
	v_add_co_u32 v203, vcc_lo, v12, v203
	s_wait_alu 0xfffd
	v_add_co_ci_u32_e32 v204, vcc_lo, v13, v204, vcc_lo
	v_add_co_u32 v207, vcc_lo, v12, v207
	s_wait_alu 0xfffd
	v_add_co_ci_u32_e32 v208, vcc_lo, v13, v208, vcc_lo
	v_add_co_u32 v205, vcc_lo, v12, v209
	v_mul_f64_e32 v[104:105], v[50:51], v[108:109]
	s_wait_alu 0xfffd
	v_add_co_ci_u32_e32 v206, vcc_lo, v13, v210, vcc_lo
	v_mul_f64_e32 v[209:210], v[6:7], v[112:113]
	s_wait_dscnt 0x0
	v_mul_f64_e32 v[112:113], v[66:67], v[112:113]
	v_fma_f64 v[162:163], v[102:103], v[162:163], -v[211:212]
	v_fma_f64 v[50:51], v[50:51], v[106:107], v[96:97]
	v_mul_f64_e32 v[96:97], v[18:19], v[140:141]
	ds_load_2addr_b64 v[76:79], v188 offset0:202 offset1:253
	ds_load_2addr_b64 v[72:75], v247 offset0:200 offset1:251
	;; [unrolled: 1-line block ×3, first 2 shown]
	v_fma_f64 v[88:89], v[54:55], v[90:91], v[88:89]
	v_mul_f64_e32 v[90:91], v[4:5], v[116:117]
	v_mul_f64_e32 v[116:117], v[64:65], v[116:117]
	v_add_co_u32 v215, vcc_lo, v12, v56
	s_wait_alu 0xfffd
	v_add_co_ci_u32_e32 v216, vcc_lo, v13, v57, vcc_lo
	ds_load_2addr_b64 v[54:57], v188 offset0:100 offset1:151
	v_mov_b32_e32 v108, v235
	v_fma_f64 v[84:85], v[98:99], v[10:11], -v[84:85]
	v_fma_f64 v[52:53], v[52:53], v[98:99], v[100:101]
	v_mul_f64_e32 v[98:99], v[20:21], v[152:153]
	s_delay_alu instid0(VALU_DEP_4)
	v_mad_co_u64_u32 v[211:212], null, s9, v15, v[108:109]
	v_lshlrev_b64_e32 v[108:109], 4, v[217:218]
	v_fma_f64 v[92:93], v[30:31], v[102:103], v[92:93]
	v_mul_f64_e32 v[102:103], v[44:45], v[124:125]
	s_wait_dscnt 0x3
	v_mul_f64_e32 v[124:125], v[78:79], v[124:125]
	s_wait_dscnt 0x2
	v_mul_f64_e32 v[140:141], v[72:73], v[140:141]
	v_mul_f64_e32 v[100:101], v[76:77], v[148:149]
	;; [unrolled: 1-line block ×3, first 2 shown]
	v_add_co_u32 v152, vcc_lo, v12, v108
	s_wait_alu 0xfffd
	v_add_co_ci_u32_e32 v153, vcc_lo, v13, v109, vcc_lo
	v_mul_f64_e32 v[108:109], v[36:37], v[144:145]
	v_fma_f64 v[104:105], v[106:107], v[8:9], -v[104:105]
	s_wait_dscnt 0x0
	v_mul_f64_e32 v[106:107], v[56:57], v[144:145]
	v_mul_f64_e32 v[144:145], v[34:35], v[136:137]
	v_fma_f64 v[66:67], v[110:111], v[66:67], -v[209:210]
	v_fma_f64 v[48:49], v[6:7], v[110:111], v[112:113]
	v_mul_f64_e32 v[110:111], v[2:3], v[132:133]
	v_mul_f64_e32 v[132:133], v[60:61], v[132:133]
	v_fma_f64 v[72:73], v[138:139], v[72:73], -v[96:97]
	v_add_f64_e32 v[96:97], v[26:27], v[239:240]
	ds_load_2addr_b64 v[8:11], v164 offset0:50 offset1:101
	v_fma_f64 v[76:77], v[146:147], v[76:77], -v[167:168]
	v_mul_f64_e32 v[112:113], v[28:29], v[160:161]
	v_fma_f64 v[64:65], v[114:115], v[64:65], -v[90:91]
	v_fma_f64 v[46:47], v[4:5], v[114:115], v[116:117]
	v_mul_f64_e32 v[114:115], v[58:59], v[156:157]
	v_mul_f64_e32 v[116:117], v[54:55], v[136:137]
	v_add_f64_e32 v[136:137], v[68:69], v[16:17]
	scratch_load_b128 v[4:7], off, off offset:16 th:TH_LOAD_LU ; 16-byte Folded Reload
	v_mul_f64_e32 v[90:91], v[0:1], v[156:157]
	v_mul_f64_e32 v[160:161], v[195:196], v[160:161]
	v_lshlrev_b64_e32 v[217:218], 4, v[219:220]
	v_lshlrev_b64_e32 v[219:220], 4, v[221:222]
	v_fma_f64 v[74:75], v[150:151], v[74:75], -v[98:99]
	v_add_f64_e32 v[98:99], v[227:228], v[162:163]
	v_lshlrev_b64_e32 v[221:222], 4, v[223:224]
	v_add_f64_e32 v[30:31], v[229:230], v[176:177]
	v_add_co_u32 v156, vcc_lo, v12, v217
	v_fma_f64 v[78:79], v[122:123], v[78:79], -v[102:103]
	v_add_f64_e32 v[102:103], v[193:194], v[227:228]
	v_fma_f64 v[38:39], v[18:19], v[138:139], v[140:141]
	v_add_f64_e64 v[140:141], v[16:17], -v[174:175]
	v_fma_f64 v[42:43], v[42:43], v[146:147], v[100:101]
	v_fma_f64 v[40:41], v[20:21], v[150:151], v[148:149]
	s_wait_dscnt 0x0
	v_add_f64_e32 v[146:147], v[10:11], v[22:23]
	v_add_f64_e64 v[150:151], v[22:23], -v[172:173]
	v_fma_f64 v[44:45], v[44:45], v[122:123], v[124:125]
	v_fma_f64 v[56:57], v[142:143], v[56:57], -v[108:109]
	s_wait_alu 0xfffd
	v_add_co_ci_u32_e32 v157, vcc_lo, v13, v218, vcc_lo
	v_fma_f64 v[36:37], v[36:37], v[142:143], v[106:107]
	v_add_f64_e32 v[142:143], v[22:23], v[172:173]
	scratch_load_b128 v[22:25], off, off offset:32 th:TH_LOAD_LU ; 16-byte Folded Reload
	v_fma_f64 v[60:61], v[130:131], v[60:61], -v[110:111]
	v_fma_f64 v[110:111], v[2:3], v[130:131], v[132:133]
	v_add_f64_e32 v[132:133], v[16:17], v[174:175]
	v_add_f64_e32 v[16:17], v[96:97], v[92:93]
	v_fma_f64 v[54:55], v[134:135], v[54:55], -v[144:145]
	v_add_co_u32 v209, vcc_lo, v12, v219
	v_fma_f64 v[106:107], v[158:159], v[195:196], -v[112:113]
	s_wait_alu 0xfffd
	v_add_co_ci_u32_e32 v210, vcc_lo, v13, v220, vcc_lo
	v_fma_f64 v[108:109], v[0:1], v[154:155], v[114:115]
	scratch_load_b128 v[0:3], off, off th:TH_LOAD_LU ; 16-byte Folded Reload
	v_fma_f64 v[34:35], v[34:35], v[134:135], v[116:117]
	v_fma_f64 v[58:59], v[154:155], v[58:59], -v[90:91]
	v_fma_f64 v[90:91], v[28:29], v[158:159], v[160:161]
	v_lshlrev_b64_e32 v[219:220], 4, v[232:233]
	v_add_f64_e64 v[100:101], v[239:240], -v[92:93]
	v_add_f64_e32 v[122:123], v[239:240], v[92:93]
	v_add_f64_e64 v[112:113], v[241:242], -v[80:81]
	v_add_f64_e32 v[114:115], v[241:242], v[80:81]
	v_add_f64_e32 v[154:155], v[84:85], v[170:171]
	;; [unrolled: 1-line block ×3, first 2 shown]
	v_add_f64_e64 v[195:196], v[84:85], -v[170:171]
	v_add_f64_e32 v[84:85], v[104:105], v[66:67]
	v_add_f64_e32 v[18:19], v[102:103], v[162:163]
	;; [unrolled: 1-line block ×3, first 2 shown]
	v_add_f64_e64 v[231:232], v[104:105], -v[66:67]
	v_add_f64_e32 v[20:21], v[76:77], v[74:75]
	v_add_f64_e64 v[134:135], v[86:87], -v[62:63]
	v_add_f64_e32 v[138:139], v[86:87], v[62:63]
	v_fma_f64 v[98:99], v[98:99], -0.5, v[193:194]
	v_add_f64_e64 v[124:125], v[227:228], -v[162:163]
	v_add_f64_e32 v[14:15], v[56:57], v[72:73]
	v_add_f64_e32 v[227:228], v[78:79], v[64:65]
	;; [unrolled: 1-line block ×4, first 2 shown]
	v_add_f64_e64 v[253:254], v[78:79], -v[64:65]
	v_add_f64_e32 v[78:79], v[42:43], v[40:41]
	v_add_f64_e64 v[144:145], v[82:83], -v[94:95]
	v_add_f64_e32 v[148:149], v[82:83], v[94:95]
	v_add_f64_e32 v[251:252], v[44:45], v[46:47]
	v_add_f64_e64 v[116:117], v[229:230], -v[176:177]
	v_add_f64_e32 v[104:105], v[54:55], v[60:61]
	v_add_f64_e32 v[167:168], v[52:53], v[88:89]
	;; [unrolled: 1-line block ×3, first 2 shown]
	v_add_co_u32 v217, vcc_lo, v12, v221
	s_wait_alu 0xfffd
	v_add_co_ci_u32_e32 v218, vcc_lo, v13, v222, vcc_lo
	v_add_f64_e64 v[158:159], v[52:53], -v[88:89]
	v_add_f64_e32 v[249:250], v[34:35], v[110:111]
	v_add_f64_e32 v[238:239], v[106:107], v[58:59]
	v_add_f64_e64 v[221:222], v[50:51], -v[48:49]
	v_add_f64_e32 v[162:163], v[189:190], v[106:107]
	v_add_f64_e64 v[245:246], v[44:45], -v[46:47]
	v_fma_f64 v[122:123], v[122:123], -0.5, v[26:27]
	v_add_f64_e32 v[187:188], v[128:129], v[76:77]
	v_add_f64_e64 v[26:27], v[76:77], -v[74:75]
	v_add_f64_e32 v[76:77], v[126:127], v[56:57]
	v_fma_f64 v[102:103], v[30:31], -0.5, v[70:71]
	v_add_f64_e32 v[70:71], v[191:192], v[54:55]
	v_add_f64_e64 v[106:107], v[106:107], -v[58:59]
	scratch_store_b128 off, v[16:19], off offset:80 ; 16-byte Folded Spill
	scratch_load_b128 v[16:19], off, off offset:48 th:TH_LOAD_LU ; 16-byte Folded Reload
	v_add_f64_e64 v[54:55], v[54:55], -v[60:61]
	v_fma_f64 v[128:129], v[20:21], -0.5, v[128:129]
	v_add_f64_e64 v[185:186], v[42:43], -v[40:41]
	v_add_f64_e64 v[96:97], v[56:57], -v[72:73]
	;; [unrolled: 1-line block ×3, first 2 shown]
	v_fma_f64 v[132:133], v[132:133], -0.5, v[68:69]
	v_fma_f64 v[126:127], v[14:15], -0.5, v[126:127]
	v_fma_f64 v[118:119], v[227:228], -0.5, v[118:119]
	v_mov_b32_e32 v235, v211
	s_delay_alu instid0(VALU_DEP_1)
	v_lshlrev_b64_e32 v[14:15], 4, v[234:235]
	v_fma_f64 v[104:105], v[104:105], -0.5, v[191:192]
	v_fma_f64 v[189:190], v[238:239], -0.5, v[189:190]
	s_wait_loadcnt 0x4
	v_add_f64_e32 v[130:131], v[199:200], v[241:242]
	v_add_f64_e32 v[240:241], v[90:91], v[108:109]
	;; [unrolled: 1-line block ×3, first 2 shown]
	v_fma_f64 v[114:115], v[114:115], -0.5, v[199:200]
	v_add_f64_e32 v[199:200], v[136:137], v[174:175]
	v_fma_f64 v[136:137], v[138:139], -0.5, v[197:198]
	v_fma_f64 v[138:139], v[142:143], -0.5, v[10:11]
	v_add_f64_e32 v[10:11], v[223:224], v[66:67]
	v_add_f64_e32 v[30:31], v[130:131], v[80:81]
	v_add_f64_e64 v[80:81], v[34:35], -v[110:111]
	v_add_f64_e32 v[197:198], v[86:87], v[62:63]
	s_delay_alu instid0(VALU_DEP_2)
	v_fma_f64 v[68:69], v[80:81], s[0:1], v[104:105]
	v_fma_f64 v[80:81], v[80:81], s[2:3], v[104:105]
	;; [unrolled: 1-line block ×3, first 2 shown]
	s_wait_loadcnt 0x3
	v_add_f64_e32 v[82:83], v[6:7], v[82:83]
	v_add_f64_e32 v[52:53], v[4:5], v[52:53]
	s_wait_loadcnt 0x2
	v_add_f64_e32 v[42:43], v[24:25], v[42:43]
	v_add_f64_e32 v[56:57], v[22:23], v[36:37]
	v_fma_f64 v[62:63], v[193:194], -0.5, v[22:23]
	v_fma_f64 v[142:143], v[78:79], -0.5, v[24:25]
	v_add_f64_e32 v[36:37], v[187:188], v[74:75]
	s_wait_loadcnt 0x1
	v_add_f64_e32 v[50:51], v[2:3], v[50:51]
	v_add_f64_e32 v[44:45], v[0:1], v[44:45]
	s_delay_alu instid0(VALU_DEP_4)
	v_fma_f64 v[86:87], v[26:27], s[0:1], v[142:143]
	s_wait_loadcnt 0x0
	v_add_f64_e32 v[176:177], v[16:17], v[90:91]
	v_add_f64_e64 v[90:91], v[90:91], -v[108:109]
	v_fma_f64 v[191:192], v[240:241], -0.5, v[16:17]
	v_add_f64_e32 v[130:131], v[18:19], v[34:35]
	v_fma_f64 v[20:21], v[249:250], -0.5, v[18:19]
	v_add_f64_e32 v[16:17], v[82:83], v[94:95]
	;; [unrolled: 2-line block ×3, first 2 shown]
	v_fma_f64 v[146:147], v[148:149], -0.5, v[6:7]
	v_fma_f64 v[148:149], v[154:155], -0.5, v[8:9]
	v_add_f64_e32 v[6:7], v[160:161], v[170:171]
	v_fma_f64 v[154:155], v[167:168], -0.5, v[4:5]
	v_fma_f64 v[160:161], v[84:85], -0.5, v[120:121]
	;; [unrolled: 1-line block ×3, first 2 shown]
	v_add_f64_e32 v[4:5], v[52:53], v[88:89]
	v_add_f64_e32 v[8:9], v[50:51], v[48:49]
	;; [unrolled: 1-line block ×8, first 2 shown]
	v_fma_f64 v[84:85], v[92:93], s[2:3], v[126:127]
	v_fma_f64 v[82:83], v[96:97], s[0:1], v[62:63]
	v_add_f64_e32 v[2:3], v[247:248], v[64:65]
	v_fma_f64 v[64:65], v[92:93], s[0:1], v[126:127]
	v_fma_f64 v[62:63], v[96:97], s[2:3], v[62:63]
	;; [unrolled: 1-line block ×13, first 2 shown]
	v_add_f64_e32 v[50:51], v[176:177], v[108:109]
	v_fma_f64 v[76:77], v[90:91], s[2:3], v[189:190]
	v_fma_f64 v[74:75], v[106:107], s[0:1], v[191:192]
	;; [unrolled: 1-line block ×4, first 2 shown]
	v_add_f64_e32 v[46:47], v[130:131], v[110:111]
	v_fma_f64 v[78:79], v[54:55], s[0:1], v[20:21]
	v_fma_f64 v[66:67], v[54:55], s[2:3], v[20:21]
	;; [unrolled: 1-line block ×11, first 2 shown]
	s_clause 0xe
	global_store_b128 v[165:166], v[50:53], off
	global_store_b128 v[201:202], v[74:77], off
	;; [unrolled: 1-line block ×15, first 2 shown]
	v_add_nc_u32_e32 v36, 0x363, v178
	v_mov_b32_e32 v2, v237
	v_fma_f64 v[128:129], v[158:159], s[2:3], v[148:149]
	v_fma_f64 v[126:127], v[195:196], s[0:1], v[154:155]
	v_add_co_u32 v0, vcc_lo, v12, v219
	v_mad_co_u64_u32 v[20:21], null, s8, v36, 0
	v_mad_co_u64_u32 v[2:3], null, s9, v255, v[2:3]
	v_add_nc_u32_e32 v37, 0x594, v178
	s_wait_alu 0xfffd
	v_add_co_ci_u32_e32 v1, vcc_lo, v13, v220, vcc_lo
	v_add_co_u32 v14, vcc_lo, v12, v14
	v_mov_b32_e32 v3, v21
	s_wait_alu 0xfffd
	v_add_co_ci_u32_e32 v15, vcc_lo, v13, v15, vcc_lo
	v_mad_co_u64_u32 v[34:35], null, s8, v37, 0
	v_mov_b32_e32 v237, v2
	v_mad_co_u64_u32 v[2:3], null, s9, v36, v[3:4]
	s_clause 0x2
	global_store_b128 v[225:226], v[8:11], off
	global_store_b128 v[0:1], v[134:137], off
	;; [unrolled: 1-line block ×3, first 2 shown]
	v_add_nc_u32_e32 v14, 0x165, v178
	v_lshlrev_b64_e32 v[0:1], 4, v[236:237]
	v_mov_b32_e32 v3, v35
	v_fma_f64 v[94:95], v[124:125], s[0:1], v[122:123]
	v_fma_f64 v[124:125], v[158:159], s[0:1], v[148:149]
	v_mad_co_u64_u32 v[8:9], null, s8, v14, 0
	v_mov_b32_e32 v21, v2
	v_mad_co_u64_u32 v[2:3], null, s9, v37, v[3:4]
	v_fma_f64 v[122:123], v[195:196], s[2:3], v[154:155]
	v_add_co_u32 v0, vcc_lo, v12, v0
	v_mov_b32_e32 v3, v9
	v_lshlrev_b64_e32 v[9:10], 4, v[20:21]
	s_wait_alu 0xfffd
	v_add_co_ci_u32_e32 v1, vcc_lo, v13, v1, vcc_lo
	v_add_nc_u32_e32 v11, 0x396, v178
	v_mov_b32_e32 v35, v2
	v_mad_co_u64_u32 v[2:3], null, s9, v14, v[3:4]
	v_add_co_u32 v9, vcc_lo, v12, v9
	s_wait_alu 0xfffd
	v_add_co_ci_u32_e32 v10, vcc_lo, v13, v10, vcc_lo
	v_mad_co_u64_u32 v[14:15], null, s8, v11, 0
	v_add_nc_u32_e32 v20, 0x5c7, v178
	s_clause 0x1
	global_store_b128 v[0:1], v[4:7], off
	global_store_b128 v[9:10], v[126:129], off
	v_mov_b32_e32 v9, v2
	v_lshlrev_b64_e32 v[0:1], 4, v[34:35]
	v_mad_co_u64_u32 v[3:4], null, s8, v20, 0
	v_mov_b32_e32 v2, v15
	s_delay_alu instid0(VALU_DEP_4)
	v_lshlrev_b64_e32 v[5:6], 4, v[8:9]
	v_fma_f64 v[118:119], v[150:151], s[0:1], v[146:147]
	v_add_co_u32 v0, vcc_lo, v12, v0
	s_wait_alu 0xfffd
	v_add_co_ci_u32_e32 v1, vcc_lo, v13, v1, vcc_lo
	v_mad_co_u64_u32 v[7:8], null, s9, v11, v[2:3]
	v_mad_co_u64_u32 v[8:9], null, s9, v20, v[4:5]
	v_add_nc_u32_e32 v20, 0x198, v178
	v_add_nc_u32_e32 v11, 0x1cb, v178
	v_add_co_u32 v4, vcc_lo, v12, v5
	v_mov_b32_e32 v15, v7
	s_delay_alu instid0(VALU_DEP_4) | instskip(NEXT) | instid1(VALU_DEP_4)
	v_mad_co_u64_u32 v[9:10], null, s8, v20, 0
	v_mul_hi_u32 v7, 0xd347a4bd, v11
	global_store_b128 v[0:1], v[122:125], off
	v_lshlrev_b64_e32 v[1:2], 4, v[14:15]
	s_wait_alu 0xfffd
	v_add_co_ci_u32_e32 v5, vcc_lo, v13, v6, vcc_lo
	v_fma_f64 v[98:99], v[116:117], s[2:3], v[114:115]
	v_mov_b32_e32 v0, v10
	v_fma_f64 v[102:103], v[116:117], s[0:1], v[114:115]
	v_fma_f64 v[116:117], v[144:145], s[0:1], v[138:139]
	;; [unrolled: 1-line block ×3, first 2 shown]
	global_store_b128 v[4:5], v[16:19], off
	v_mad_co_u64_u32 v[5:6], null, s9, v20, v[0:1]
	v_sub_nc_u32_e32 v6, v11, v7
	v_mov_b32_e32 v4, v8
	v_dual_mov_b32 v16, v11 :: v_dual_add_nc_u32 v11, 0x3c9, v178
	v_add_nc_u32_e32 v14, 0x5fa, v178
	s_delay_alu instid0(VALU_DEP_4) | instskip(SKIP_3) | instid1(VALU_DEP_3)
	v_lshrrev_b32_e32 v6, 1, v6
	v_add_co_u32 v0, vcc_lo, v12, v1
	s_wait_alu 0xfffd
	v_add_co_ci_u32_e32 v1, vcc_lo, v13, v2, vcc_lo
	v_add_nc_u32_e32 v8, v6, v7
	v_lshlrev_b64_e32 v[2:3], 4, v[3:4]
	v_mov_b32_e32 v10, v5
	v_mad_co_u64_u32 v[4:5], null, s8, v11, 0
	v_mad_co_u64_u32 v[6:7], null, s8, v14, 0
	v_lshrrev_b32_e32 v15, 9, v8
	s_delay_alu instid0(VALU_DEP_4)
	v_lshlrev_b64_e32 v[8:9], 4, v[9:10]
	v_add_co_u32 v2, vcc_lo, v12, v2
	s_wait_alu 0xfffd
	v_add_co_ci_u32_e32 v3, vcc_lo, v13, v3, vcc_lo
	v_mad_co_u64_u32 v[10:11], null, s9, v11, v[5:6]
	v_mad_u32_u24 v17, 0x462, v15, v16
	v_mad_co_u64_u32 v[14:15], null, s9, v14, v[7:8]
	v_mul_hi_u32 v11, 0xd347a4bd, v169
	v_add_co_u32 v8, vcc_lo, v12, v8
	s_delay_alu instid0(VALU_DEP_4)
	v_mad_co_u64_u32 v[15:16], null, s8, v17, 0
	v_mov_b32_e32 v5, v10
	s_wait_alu 0xfffd
	v_add_co_ci_u32_e32 v9, vcc_lo, v13, v9, vcc_lo
	s_clause 0x1
	global_store_b128 v[0:1], v[118:121], off
	global_store_b128 v[2:3], v[114:117], off
	v_mov_b32_e32 v7, v14
	v_lshlrev_b64_e32 v[1:2], 4, v[4:5]
	v_mov_b32_e32 v0, v16
	global_store_b128 v[8:9], v[197:200], off
	v_sub_nc_u32_e32 v8, v169, v11
	v_lshlrev_b64_e32 v[3:4], 4, v[6:7]
	v_add_nc_u32_e32 v10, 0x462, v17
	v_mad_co_u64_u32 v[5:6], null, s9, v17, v[0:1]
	s_delay_alu instid0(VALU_DEP_4) | instskip(SKIP_3) | instid1(VALU_DEP_3)
	v_lshrrev_b32_e32 v6, 1, v8
	v_add_co_u32 v0, vcc_lo, v12, v1
	s_wait_alu 0xfffd
	v_add_co_ci_u32_e32 v1, vcc_lo, v13, v2, vcc_lo
	v_add_nc_u32_e32 v6, v6, v11
	v_add_co_u32 v2, vcc_lo, v12, v3
	v_add_nc_u32_e32 v8, 0x231, v17
	s_wait_alu 0xfffd
	v_add_co_ci_u32_e32 v3, vcc_lo, v13, v4, vcc_lo
	v_lshrrev_b32_e32 v6, 9, v6
	v_mov_b32_e32 v16, v5
	v_mad_co_u64_u32 v[4:5], null, s8, v8, 0
	global_store_b128 v[0:1], v[110:113], off
	v_mad_u32_u24 v14, 0x462, v6, v169
	global_store_b128 v[2:3], v[106:109], off
	v_mad_co_u64_u32 v[2:3], null, s8, v10, 0
	v_lshlrev_b64_e32 v[0:1], 4, v[15:16]
	v_mad_co_u64_u32 v[6:7], null, s8, v14, 0
	v_add_nc_u32_e32 v17, 0x231, v14
	v_add_nc_u32_e32 v18, 0x462, v14
	s_delay_alu instid0(VALU_DEP_4)
	v_add_co_u32 v0, vcc_lo, v12, v0
	s_wait_alu 0xfffd
	v_add_co_ci_u32_e32 v1, vcc_lo, v13, v1, vcc_lo
	v_mad_co_u64_u32 v[8:9], null, s9, v8, v[5:6]
	v_mad_co_u64_u32 v[9:10], null, s9, v10, v[3:4]
	v_mov_b32_e32 v3, v7
	v_mad_co_u64_u32 v[10:11], null, s8, v17, 0
	global_store_b128 v[0:1], v[30:33], off
	v_mov_b32_e32 v5, v8
	v_mad_co_u64_u32 v[14:15], null, s9, v14, v[3:4]
	v_mad_co_u64_u32 v[15:16], null, s8, v18, 0
	v_dual_mov_b32 v0, v11 :: v_dual_mov_b32 v3, v9
	s_delay_alu instid0(VALU_DEP_4) | instskip(NEXT) | instid1(VALU_DEP_4)
	v_lshlrev_b64_e32 v[4:5], 4, v[4:5]
	v_mov_b32_e32 v7, v14
	s_delay_alu instid0(VALU_DEP_3) | instskip(NEXT) | instid1(VALU_DEP_4)
	v_mad_co_u64_u32 v[0:1], null, s9, v17, v[0:1]
	v_lshlrev_b64_e32 v[2:3], 4, v[2:3]
	v_mov_b32_e32 v1, v16
	v_add_co_u32 v4, vcc_lo, v12, v4
	s_wait_alu 0xfffd
	v_add_co_ci_u32_e32 v5, vcc_lo, v13, v5, vcc_lo
	v_mov_b32_e32 v11, v0
	v_mad_co_u64_u32 v[8:9], null, s9, v18, v[1:2]
	v_lshlrev_b64_e32 v[6:7], 4, v[6:7]
	v_add_co_u32 v0, vcc_lo, v12, v2
	s_wait_alu 0xfffd
	v_add_co_ci_u32_e32 v1, vcc_lo, v13, v3, vcc_lo
	v_lshlrev_b64_e32 v[2:3], 4, v[10:11]
	v_mov_b32_e32 v16, v8
	v_add_co_u32 v6, vcc_lo, v12, v6
	s_wait_alu 0xfffd
	v_add_co_ci_u32_e32 v7, vcc_lo, v13, v7, vcc_lo
	s_delay_alu instid0(VALU_DEP_3)
	v_lshlrev_b64_e32 v[8:9], 4, v[15:16]
	v_add_co_u32 v2, vcc_lo, v12, v2
	s_wait_alu 0xfffd
	v_add_co_ci_u32_e32 v3, vcc_lo, v13, v3, vcc_lo
	s_clause 0x1
	global_store_b128 v[4:5], v[102:105], off
	global_store_b128 v[0:1], v[98:101], off
	v_add_co_u32 v8, vcc_lo, v12, v8
	s_wait_alu 0xfffd
	v_add_co_ci_u32_e32 v9, vcc_lo, v13, v9, vcc_lo
	scratch_load_b128 v[10:13], off, off offset:80 th:TH_LOAD_LU ; 16-byte Folded Reload
	s_wait_loadcnt 0x0
	s_clause 0x2
	global_store_b128 v[6:7], v[10:13], off
	global_store_b128 v[2:3], v[94:97], off
	;; [unrolled: 1-line block ×3, first 2 shown]
.LBB0_19:
	s_endpgm
	.section	.rodata,"a",@progbits
	.p2align	6, 0x0
	.amdhsa_kernel fft_rtc_back_len1683_factors_17_3_11_3_wgs_51_tpt_51_halfLds_dp_ip_CI_sbrr_dirReg
		.amdhsa_group_segment_fixed_size 0
		.amdhsa_private_segment_fixed_size 284
		.amdhsa_kernarg_size 88
		.amdhsa_user_sgpr_count 2
		.amdhsa_user_sgpr_dispatch_ptr 0
		.amdhsa_user_sgpr_queue_ptr 0
		.amdhsa_user_sgpr_kernarg_segment_ptr 1
		.amdhsa_user_sgpr_dispatch_id 0
		.amdhsa_user_sgpr_private_segment_size 0
		.amdhsa_wavefront_size32 1
		.amdhsa_uses_dynamic_stack 0
		.amdhsa_enable_private_segment 1
		.amdhsa_system_sgpr_workgroup_id_x 1
		.amdhsa_system_sgpr_workgroup_id_y 0
		.amdhsa_system_sgpr_workgroup_id_z 0
		.amdhsa_system_sgpr_workgroup_info 0
		.amdhsa_system_vgpr_workitem_id 0
		.amdhsa_next_free_vgpr 256
		.amdhsa_next_free_sgpr 58
		.amdhsa_reserve_vcc 1
		.amdhsa_float_round_mode_32 0
		.amdhsa_float_round_mode_16_64 0
		.amdhsa_float_denorm_mode_32 3
		.amdhsa_float_denorm_mode_16_64 3
		.amdhsa_fp16_overflow 0
		.amdhsa_workgroup_processor_mode 1
		.amdhsa_memory_ordered 1
		.amdhsa_forward_progress 0
		.amdhsa_round_robin_scheduling 0
		.amdhsa_exception_fp_ieee_invalid_op 0
		.amdhsa_exception_fp_denorm_src 0
		.amdhsa_exception_fp_ieee_div_zero 0
		.amdhsa_exception_fp_ieee_overflow 0
		.amdhsa_exception_fp_ieee_underflow 0
		.amdhsa_exception_fp_ieee_inexact 0
		.amdhsa_exception_int_div_zero 0
	.end_amdhsa_kernel
	.text
.Lfunc_end0:
	.size	fft_rtc_back_len1683_factors_17_3_11_3_wgs_51_tpt_51_halfLds_dp_ip_CI_sbrr_dirReg, .Lfunc_end0-fft_rtc_back_len1683_factors_17_3_11_3_wgs_51_tpt_51_halfLds_dp_ip_CI_sbrr_dirReg
                                        ; -- End function
	.section	.AMDGPU.csdata,"",@progbits
; Kernel info:
; codeLenInByte = 31556
; NumSgprs: 60
; NumVgprs: 256
; ScratchSize: 284
; MemoryBound: 1
; FloatMode: 240
; IeeeMode: 1
; LDSByteSize: 0 bytes/workgroup (compile time only)
; SGPRBlocks: 7
; VGPRBlocks: 31
; NumSGPRsForWavesPerEU: 60
; NumVGPRsForWavesPerEU: 256
; Occupancy: 5
; WaveLimiterHint : 1
; COMPUTE_PGM_RSRC2:SCRATCH_EN: 1
; COMPUTE_PGM_RSRC2:USER_SGPR: 2
; COMPUTE_PGM_RSRC2:TRAP_HANDLER: 0
; COMPUTE_PGM_RSRC2:TGID_X_EN: 1
; COMPUTE_PGM_RSRC2:TGID_Y_EN: 0
; COMPUTE_PGM_RSRC2:TGID_Z_EN: 0
; COMPUTE_PGM_RSRC2:TIDIG_COMP_CNT: 0
	.text
	.p2alignl 7, 3214868480
	.fill 96, 4, 3214868480
	.type	__hip_cuid_552be7e9a47d996f,@object ; @__hip_cuid_552be7e9a47d996f
	.section	.bss,"aw",@nobits
	.globl	__hip_cuid_552be7e9a47d996f
__hip_cuid_552be7e9a47d996f:
	.byte	0                               ; 0x0
	.size	__hip_cuid_552be7e9a47d996f, 1

	.ident	"AMD clang version 19.0.0git (https://github.com/RadeonOpenCompute/llvm-project roc-6.4.0 25133 c7fe45cf4b819c5991fe208aaa96edf142730f1d)"
	.section	".note.GNU-stack","",@progbits
	.addrsig
	.addrsig_sym __hip_cuid_552be7e9a47d996f
	.amdgpu_metadata
---
amdhsa.kernels:
  - .args:
      - .actual_access:  read_only
        .address_space:  global
        .offset:         0
        .size:           8
        .value_kind:     global_buffer
      - .offset:         8
        .size:           8
        .value_kind:     by_value
      - .actual_access:  read_only
        .address_space:  global
        .offset:         16
        .size:           8
        .value_kind:     global_buffer
      - .actual_access:  read_only
        .address_space:  global
        .offset:         24
        .size:           8
        .value_kind:     global_buffer
      - .offset:         32
        .size:           8
        .value_kind:     by_value
      - .actual_access:  read_only
        .address_space:  global
        .offset:         40
        .size:           8
        .value_kind:     global_buffer
      - .actual_access:  read_only
        .address_space:  global
        .offset:         48
        .size:           8
        .value_kind:     global_buffer
      - .offset:         56
        .size:           4
        .value_kind:     by_value
      - .actual_access:  read_only
        .address_space:  global
        .offset:         64
        .size:           8
        .value_kind:     global_buffer
      - .actual_access:  read_only
        .address_space:  global
        .offset:         72
        .size:           8
        .value_kind:     global_buffer
      - .address_space:  global
        .offset:         80
        .size:           8
        .value_kind:     global_buffer
    .group_segment_fixed_size: 0
    .kernarg_segment_align: 8
    .kernarg_segment_size: 88
    .language:       OpenCL C
    .language_version:
      - 2
      - 0
    .max_flat_workgroup_size: 51
    .name:           fft_rtc_back_len1683_factors_17_3_11_3_wgs_51_tpt_51_halfLds_dp_ip_CI_sbrr_dirReg
    .private_segment_fixed_size: 284
    .sgpr_count:     60
    .sgpr_spill_count: 0
    .symbol:         fft_rtc_back_len1683_factors_17_3_11_3_wgs_51_tpt_51_halfLds_dp_ip_CI_sbrr_dirReg.kd
    .uniform_work_group_size: 1
    .uses_dynamic_stack: false
    .vgpr_count:     256
    .vgpr_spill_count: 222
    .wavefront_size: 32
    .workgroup_processor_mode: 1
amdhsa.target:   amdgcn-amd-amdhsa--gfx1201
amdhsa.version:
  - 1
  - 2
...

	.end_amdgpu_metadata
